;; amdgpu-corpus repo=ROCm/hip-tests kind=compiled arch=gfx1250 opt=O3
	.amdgcn_target "amdgcn-amd-amdhsa--gfx1250"
	.amdhsa_code_object_version 6
	.section	.text._Z6kernelIfEvPSt7complexIT_ES3_S3_8CalcKind,"axG",@progbits,_Z6kernelIfEvPSt7complexIT_ES3_S3_8CalcKind,comdat
	.protected	_Z6kernelIfEvPSt7complexIT_ES3_S3_8CalcKind ; -- Begin function _Z6kernelIfEvPSt7complexIT_ES3_S3_8CalcKind
	.globl	_Z6kernelIfEvPSt7complexIT_ES3_S3_8CalcKind
	.p2align	8
	.type	_Z6kernelIfEvPSt7complexIT_ES3_S3_8CalcKind,@function
_Z6kernelIfEvPSt7complexIT_ES3_S3_8CalcKind: ; @_Z6kernelIfEvPSt7complexIT_ES3_S3_8CalcKind
; %bb.0:
	s_clause 0x1
	s_load_b32 s2, s[0:1], 0x2c
	s_load_b128 s[4:7], s[0:1], 0x0
	s_bfe_u32 s3, ttmp6, 0x4000c
	s_and_b32 s8, ttmp6, 15
	s_add_co_i32 s3, s3, 1
	s_getreg_b32 s9, hwreg(HW_REG_IB_STS2, 6, 4)
	s_mul_i32 s3, ttmp9, s3
	s_delay_alu instid0(SALU_CYCLE_1)
	s_add_co_i32 s8, s8, s3
	s_wait_kmcnt 0x0
	s_and_b32 s2, s2, 0xffff
	s_cmp_eq_u32 s9, 0
	s_cselect_b32 s3, ttmp9, s8
	s_load_b96 s[8:10], s[0:1], 0x10
	v_mad_u32 v0, s3, s2, v0
	global_load_b64 v[2:3], v0, s[4:5] scale_offset
	v_ashrrev_i32_e32 v1, 31, v0
	s_wait_kmcnt 0x0
	s_cmp_lt_i32 s10, 4
	s_cbranch_scc1 .LBB0_6
; %bb.1:
	s_cmp_lt_i32 s10, 6
	s_cbranch_scc1 .LBB0_7
; %bb.2:
	;; [unrolled: 3-line block ×3, first 2 shown]
	s_wait_loadcnt 0x0
	v_dual_mov_b32 v5, v3 :: v_dual_mov_b32 v4, v2
	s_cmp_eq_u32 s10, 7
	s_cbranch_scc0 .LBB0_10
; %bb.4:
	v_and_b32_e32 v4, 0x7fffffff, v2
	v_cmp_ngt_f32_e64 s2, 0x48000000, |v2|
                                        ; implicit-def: $vgpr6
                                        ; implicit-def: $vgpr5
	s_delay_alu instid0(VALU_DEP_2) | instskip(SKIP_1) | instid1(SALU_CYCLE_1)
	v_lshrrev_b32_e32 v9, 23, v4
	s_and_saveexec_b32 s0, s2
	s_xor_b32 s3, exec_lo, s0
	s_cbranch_execz .LBB0_11
; %bb.5:
	s_mov_b32 s0, 0x7fffff
	v_mov_b32_e32 v7, 0
	v_and_or_b32 v6, v4, s0, 0x800000
	s_mov_b64 s[0:1], 0xfe5163ab
	v_add_nc_u32_e32 v5, 0xffffff88, v9
	s_delay_alu instid0(VALU_DEP_2) | instskip(NEXT) | instid1(VALU_DEP_2)
	v_mul_u64_e32 v[10:11], s[0:1], v[6:7]
	v_cmp_lt_u32_e32 vcc_lo, 63, v5
	v_cndmask_b32_e64 v8, 0, 0xffffffc0, vcc_lo
	s_delay_alu instid0(VALU_DEP_3) | instskip(SKIP_2) | instid1(VALU_DEP_3)
	v_dual_mov_b32 v12, v11 :: v_dual_mov_b32 v13, v7
	v_dual_mov_b32 v15, v7 :: v_dual_mov_b32 v17, v7
	;; [unrolled: 1-line block ×3, first 2 shown]
	v_mad_nc_u64_u32 v[12:13], 0x3c439041, v6, v[12:13]
	v_dual_add_nc_u32 v5, v8, v5 :: v_dual_mov_b32 v23, v7
	s_delay_alu instid0(VALU_DEP_1) | instskip(NEXT) | instid1(VALU_DEP_3)
	v_cmp_lt_u32_e64 s0, 31, v5
	v_mov_b32_e32 v14, v13
	s_delay_alu instid0(VALU_DEP_2) | instskip(NEXT) | instid1(VALU_DEP_2)
	v_cndmask_b32_e64 v8, 0, 0xffffffe0, s0
	v_mad_nc_u64_u32 v[14:15], 0xdb629599, v6, v[14:15]
	s_delay_alu instid0(VALU_DEP_2) | instskip(NEXT) | instid1(VALU_DEP_1)
	v_add_nc_u32_e32 v5, v8, v5
	v_cmp_lt_u32_e64 s1, 31, v5
	s_delay_alu instid0(VALU_DEP_3) | instskip(NEXT) | instid1(VALU_DEP_2)
	v_mov_b32_e32 v16, v15
	v_cndmask_b32_e64 v8, 0, 0xffffffe0, s1
	s_delay_alu instid0(VALU_DEP_2) | instskip(NEXT) | instid1(VALU_DEP_1)
	v_mad_nc_u64_u32 v[16:17], 0xf534ddc0, v6, v[16:17]
	v_mov_b32_e32 v18, v17
	s_delay_alu instid0(VALU_DEP_1) | instskip(NEXT) | instid1(VALU_DEP_1)
	v_mad_nc_u64_u32 v[18:19], 0xfc2757d1, v6, v[18:19]
	v_dual_mov_b32 v20, v19 :: v_dual_cndmask_b32 v13, v18, v14
	s_delay_alu instid0(VALU_DEP_1) | instskip(NEXT) | instid1(VALU_DEP_1)
	v_mad_nc_u64_u32 v[20:21], 0x4e441529, v6, v[20:21]
	v_mov_b32_e32 v22, v21
	s_delay_alu instid0(VALU_DEP_1) | instskip(NEXT) | instid1(VALU_DEP_1)
	v_mad_nc_u64_u32 v[6:7], 0xa2f9836e, v6, v[22:23]
	v_dual_cndmask_b32 v11, v20, v16 :: v_dual_cndmask_b32 v6, v6, v18
	s_delay_alu instid0(VALU_DEP_2) | instskip(NEXT) | instid1(VALU_DEP_2)
	v_dual_cndmask_b32 v7, v7, v20, vcc_lo :: v_dual_add_nc_u32 v5, v8, v5
	v_dual_cndmask_b32 v8, v16, v12, vcc_lo :: v_dual_cndmask_b32 v12, v6, v11, s0
	s_delay_alu instid0(VALU_DEP_2) | instskip(NEXT) | instid1(VALU_DEP_2)
	v_cndmask_b32_e64 v6, v7, v6, s0
	v_dual_cndmask_b32 v7, v11, v13, s0 :: v_dual_cndmask_b32 v13, v13, v8, s0
	s_delay_alu instid0(VALU_DEP_2) | instskip(NEXT) | instid1(VALU_DEP_2)
	v_dual_sub_nc_u32 v11, 32, v5 :: v_dual_cndmask_b32 v6, v6, v12, s1
	v_dual_cndmask_b32 v12, v12, v7, s1 :: v_dual_cndmask_b32 v7, v7, v13, s1
	v_cndmask_b32_e32 v10, v14, v10, vcc_lo
	v_cmp_eq_u32_e32 vcc_lo, 0, v5
	s_delay_alu instid0(VALU_DEP_3) | instskip(NEXT) | instid1(VALU_DEP_4)
	v_alignbit_b32 v15, v6, v12, v11
	v_alignbit_b32 v14, v12, v7, v11
	s_delay_alu instid0(VALU_DEP_2) | instskip(NEXT) | instid1(VALU_DEP_2)
	v_cndmask_b32_e32 v5, v15, v6, vcc_lo
	v_dual_cndmask_b32 v6, v8, v10, s0 :: v_dual_cndmask_b32 v8, v14, v12, vcc_lo
	s_delay_alu instid0(VALU_DEP_1) | instskip(NEXT) | instid1(VALU_DEP_3)
	v_cndmask_b32_e64 v6, v13, v6, s1
	v_bfe_u32 v10, v5, 29, 1
	s_delay_alu instid0(VALU_DEP_3) | instskip(NEXT) | instid1(VALU_DEP_3)
	v_alignbit_b32 v12, v5, v8, 30
	v_alignbit_b32 v11, v7, v6, v11
	s_delay_alu instid0(VALU_DEP_1) | instskip(NEXT) | instid1(VALU_DEP_1)
	v_dual_sub_nc_u32 v13, 0, v10 :: v_dual_cndmask_b32 v7, v11, v7, vcc_lo
	v_xor_b32_e32 v12, v12, v13
	s_delay_alu instid0(VALU_DEP_2) | instskip(NEXT) | instid1(VALU_DEP_2)
	v_alignbit_b32 v8, v8, v7, 30
	v_clz_i32_u32_e32 v11, v12
	v_alignbit_b32 v6, v7, v6, 30
	s_delay_alu instid0(VALU_DEP_2) | instskip(NEXT) | instid1(VALU_DEP_4)
	v_min_u32_e32 v11, 32, v11
	v_xor_b32_e32 v7, v8, v13
	s_delay_alu instid0(VALU_DEP_3) | instskip(NEXT) | instid1(VALU_DEP_3)
	v_xor_b32_e32 v6, v6, v13
	v_dual_lshrrev_b32 v13, 29, v5 :: v_dual_lshlrev_b32 v14, 23, v11
	v_sub_nc_u32_e32 v8, 31, v11
	s_delay_alu instid0(VALU_DEP_1) | instskip(NEXT) | instid1(VALU_DEP_4)
	v_alignbit_b32 v12, v12, v7, v8
	v_alignbit_b32 v6, v7, v6, v8
	s_delay_alu instid0(VALU_DEP_4) | instskip(NEXT) | instid1(VALU_DEP_2)
	v_lshlrev_b32_e32 v7, 31, v13
	v_alignbit_b32 v8, v12, v6, 9
	s_delay_alu instid0(VALU_DEP_2) | instskip(SKIP_1) | instid1(VALU_DEP_3)
	v_dual_lshrrev_b32 v12, 9, v12 :: v_dual_bitop2_b32 v13, 0.5, v7 bitop3:0x54
	v_or_b32_e32 v7, 0x33000000, v7
	v_clz_i32_u32_e32 v15, v8
	s_delay_alu instid0(VALU_DEP_3) | instskip(NEXT) | instid1(VALU_DEP_2)
	v_sub_nc_u32_e32 v13, v13, v14
	v_min_u32_e32 v14, 32, v15
	s_delay_alu instid0(VALU_DEP_1) | instskip(NEXT) | instid1(VALU_DEP_1)
	v_add_lshl_u32 v11, v14, v11, 23
	v_dual_sub_nc_u32 v7, v7, v11 :: v_dual_bitop2_b32 v12, v12, v13 bitop3:0x54
	v_not_b32_e32 v13, v14
	s_delay_alu instid0(VALU_DEP_1) | instskip(NEXT) | instid1(VALU_DEP_1)
	v_alignbit_b32 v6, v8, v6, v13
	v_lshrrev_b32_e32 v6, 9, v6
	s_delay_alu instid0(VALU_DEP_1) | instskip(SKIP_1) | instid1(VALU_DEP_1)
	v_or_b32_e32 v6, v7, v6
	v_mul_f32_e32 v15, 0x3fc90fda, v12
	v_fma_f32 v8, 0x3fc90fda, v12, -v15
	s_delay_alu instid0(VALU_DEP_1) | instskip(NEXT) | instid1(VALU_DEP_1)
	v_fmamk_f32 v8, v12, 0x33a22168, v8
	v_fmac_f32_e32 v8, 0x3fc90fda, v6
	s_delay_alu instid0(VALU_DEP_1) | instskip(NEXT) | instid1(VALU_DEP_1)
	v_dual_add_f32 v5, v15, v8 :: v_dual_lshrrev_b32 v6, 30, v5
	v_add_nc_u32_e32 v6, v10, v6
	s_and_not1_saveexec_b32 s0, s3
	s_branch .LBB0_12
.LBB0_6:
                                        ; implicit-def: $vgpr5
	s_branch .LBB0_35
.LBB0_7:
                                        ; implicit-def: $vgpr5
	s_branch .LBB0_28
.LBB0_8:
	s_cbranch_execnz .LBB0_59
	s_branch .LBB0_35
.LBB0_9:
                                        ; implicit-def: $vgpr5
	s_branch .LBB0_18
.LBB0_10:
	s_cbranch_execnz .LBB0_27
	s_branch .LBB0_18
.LBB0_11:
	s_and_not1_saveexec_b32 s0, s3
.LBB0_12:
	v_mul_f32_e64 v5, 0x3f22f983, |v2|
	s_delay_alu instid0(VALU_DEP_1) | instskip(NEXT) | instid1(VALU_DEP_1)
	v_rndne_f32_e32 v6, v5
	v_fma_f32 v5, 0xbfc90fda, v6, |v2|
	s_delay_alu instid0(VALU_DEP_1) | instskip(NEXT) | instid1(VALU_DEP_1)
	v_fmamk_f32 v5, v6, 0xb3a22168, v5
	v_fmamk_f32 v5, v6, 0xa7c234c4, v5
	v_cvt_i32_f32_e32 v6, v6
; %bb.13:
	s_or_b32 exec_lo, exec_lo, s0
                                        ; implicit-def: $vgpr8
                                        ; implicit-def: $vgpr7
	s_and_saveexec_b32 s0, s2
	s_delay_alu instid0(SALU_CYCLE_1)
	s_xor_b32 s2, exec_lo, s0
	s_cbranch_execz .LBB0_15
; %bb.14:
	s_mov_b32 s0, 0x7fffff
	v_mov_b32_e32 v11, 0
	v_and_or_b32 v10, v4, s0, 0x800000
	s_mov_b64 s[0:1], 0xfe5163ab
	v_add_nc_u32_e32 v7, 0xffffff88, v9
	s_delay_alu instid0(VALU_DEP_2) | instskip(NEXT) | instid1(VALU_DEP_2)
	v_mul_u64_e32 v[12:13], s[0:1], v[10:11]
	v_cmp_lt_u32_e32 vcc_lo, 63, v7
	s_delay_alu instid0(VALU_DEP_2) | instskip(SKIP_2) | instid1(VALU_DEP_3)
	v_dual_mov_b32 v14, v13 :: v_dual_mov_b32 v15, v11
	v_dual_mov_b32 v17, v11 :: v_dual_mov_b32 v19, v11
	;; [unrolled: 1-line block ×3, first 2 shown]
	v_mad_nc_u64_u32 v[14:15], 0x3c439041, v10, v[14:15]
	v_cndmask_b32_e64 v13, 0, 0xffffffc0, vcc_lo
	s_delay_alu instid0(VALU_DEP_2) | instskip(NEXT) | instid1(VALU_DEP_1)
	v_mov_b32_e32 v16, v15
	v_mad_nc_u64_u32 v[16:17], 0xdb629599, v10, v[16:17]
	s_delay_alu instid0(VALU_DEP_1) | instskip(NEXT) | instid1(VALU_DEP_1)
	v_dual_mov_b32 v18, v17 :: v_dual_cndmask_b32 v12, v16, v12, vcc_lo
	v_mad_nc_u64_u32 v[18:19], 0xf534ddc0, v10, v[18:19]
	s_delay_alu instid0(VALU_DEP_1) | instskip(NEXT) | instid1(VALU_DEP_1)
	v_mov_b32_e32 v20, v19
	v_mad_nc_u64_u32 v[20:21], 0xfc2757d1, v10, v[20:21]
	s_delay_alu instid0(VALU_DEP_1) | instskip(NEXT) | instid1(VALU_DEP_1)
	v_mov_b32_e32 v22, v21
	v_mad_nc_u64_u32 v[8:9], 0x4e441529, v10, v[22:23]
	s_delay_alu instid0(VALU_DEP_1) | instskip(NEXT) | instid1(VALU_DEP_1)
	v_dual_add_nc_u32 v7, v13, v7 :: v_dual_cndmask_b32 v13, v8, v18, vcc_lo
	v_cmp_lt_u32_e64 s0, 31, v7
	s_delay_alu instid0(VALU_DEP_3) | instskip(NEXT) | instid1(VALU_DEP_2)
	v_mov_b32_e32 v22, v9
	v_cndmask_b32_e64 v9, 0, 0xffffffe0, s0
	s_delay_alu instid0(VALU_DEP_1) | instskip(NEXT) | instid1(VALU_DEP_3)
	v_add_nc_u32_e32 v7, v9, v7
	v_mad_nc_u64_u32 v[10:11], 0xa2f9836e, v10, v[22:23]
	s_delay_alu instid0(VALU_DEP_2) | instskip(NEXT) | instid1(VALU_DEP_1)
	v_cmp_lt_u32_e64 s1, 31, v7
	v_cndmask_b32_e64 v9, 0, 0xffffffe0, s1
	s_delay_alu instid0(VALU_DEP_3) | instskip(NEXT) | instid1(VALU_DEP_2)
	v_cndmask_b32_e32 v10, v10, v20, vcc_lo
	v_dual_cndmask_b32 v8, v11, v8 :: v_dual_add_nc_u32 v7, v9, v7
	v_dual_cndmask_b32 v11, v20, v16, vcc_lo :: v_dual_cndmask_b32 v9, v18, v14, vcc_lo
	s_delay_alu instid0(VALU_DEP_2) | instskip(NEXT) | instid1(VALU_DEP_3)
	v_dual_cndmask_b32 v14, v10, v13, s0 :: v_dual_cndmask_b32 v8, v8, v10, s0
	v_cmp_eq_u32_e32 vcc_lo, 0, v7
	s_delay_alu instid0(VALU_DEP_3) | instskip(NEXT) | instid1(VALU_DEP_4)
	v_cndmask_b32_e64 v10, v13, v11, s0
	v_dual_sub_nc_u32 v13, 32, v7 :: v_dual_cndmask_b32 v11, v11, v9, s0
	s_delay_alu instid0(VALU_DEP_4) | instskip(NEXT) | instid1(VALU_DEP_3)
	v_cndmask_b32_e64 v8, v8, v14, s1
	v_cndmask_b32_e64 v14, v14, v10, s1
	s_delay_alu instid0(VALU_DEP_3) | instskip(NEXT) | instid1(VALU_DEP_2)
	v_cndmask_b32_e64 v10, v10, v11, s1
	v_alignbit_b32 v15, v8, v14, v13
	s_delay_alu instid0(VALU_DEP_2) | instskip(NEXT) | instid1(VALU_DEP_2)
	v_alignbit_b32 v16, v14, v10, v13
	v_cndmask_b32_e32 v7, v15, v8, vcc_lo
	s_delay_alu instid0(VALU_DEP_2) | instskip(NEXT) | instid1(VALU_DEP_2)
	v_dual_cndmask_b32 v8, v9, v12, s0 :: v_dual_cndmask_b32 v9, v16, v14, vcc_lo
	v_bfe_u32 v12, v7, 29, 1
	s_delay_alu instid0(VALU_DEP_1) | instskip(NEXT) | instid1(VALU_DEP_3)
	v_sub_nc_u32_e32 v14, 0, v12
	v_cndmask_b32_e64 v8, v11, v8, s1
	s_delay_alu instid0(VALU_DEP_4) | instskip(NEXT) | instid1(VALU_DEP_1)
	v_alignbit_b32 v11, v7, v9, 30
	v_xor_b32_e32 v11, v11, v14
	s_delay_alu instid0(VALU_DEP_3) | instskip(NEXT) | instid1(VALU_DEP_1)
	v_alignbit_b32 v13, v10, v8, v13
	v_cndmask_b32_e32 v10, v13, v10, vcc_lo
	s_delay_alu instid0(VALU_DEP_3) | instskip(NEXT) | instid1(VALU_DEP_2)
	v_clz_i32_u32_e32 v13, v11
	v_alignbit_b32 v9, v9, v10, 30
	s_delay_alu instid0(VALU_DEP_2) | instskip(SKIP_1) | instid1(VALU_DEP_2)
	v_min_u32_e32 v13, 32, v13
	v_alignbit_b32 v8, v10, v8, 30
	v_dual_sub_nc_u32 v10, 31, v13 :: v_dual_bitop2_b32 v9, v9, v14 bitop3:0x14
	s_delay_alu instid0(VALU_DEP_2) | instskip(NEXT) | instid1(VALU_DEP_2)
	v_dual_lshrrev_b32 v14, 29, v7 :: v_dual_bitop2_b32 v8, v8, v14 bitop3:0x14
	v_alignbit_b32 v11, v11, v9, v10
	s_delay_alu instid0(VALU_DEP_2) | instskip(NEXT) | instid1(VALU_DEP_3)
	v_alignbit_b32 v8, v9, v8, v10
	v_lshlrev_b32_e32 v9, 31, v14
	s_delay_alu instid0(VALU_DEP_2) | instskip(NEXT) | instid1(VALU_DEP_2)
	v_alignbit_b32 v10, v11, v8, 9
	v_dual_lshrrev_b32 v11, 9, v11 :: v_dual_bitop2_b32 v14, 0.5, v9 bitop3:0x54
	v_lshlrev_b32_e32 v15, 23, v13
	v_or_b32_e32 v9, 0x33000000, v9
	s_delay_alu instid0(VALU_DEP_4) | instskip(NEXT) | instid1(VALU_DEP_3)
	v_clz_i32_u32_e32 v16, v10
	v_sub_nc_u32_e32 v14, v14, v15
	s_delay_alu instid0(VALU_DEP_2) | instskip(NEXT) | instid1(VALU_DEP_1)
	v_min_u32_e32 v15, 32, v16
	v_add_lshl_u32 v13, v15, v13, 23
	s_delay_alu instid0(VALU_DEP_1) | instskip(SKIP_1) | instid1(VALU_DEP_2)
	v_dual_sub_nc_u32 v9, v9, v13 :: v_dual_bitop2_b32 v11, v11, v14 bitop3:0x54
	v_not_b32_e32 v14, v15
	v_mul_f32_e32 v16, 0x3fc90fda, v11
	s_delay_alu instid0(VALU_DEP_2) | instskip(NEXT) | instid1(VALU_DEP_2)
	v_alignbit_b32 v8, v10, v8, v14
	v_fma_f32 v10, 0x3fc90fda, v11, -v16
	s_delay_alu instid0(VALU_DEP_2) | instskip(NEXT) | instid1(VALU_DEP_2)
	v_lshrrev_b32_e32 v8, 9, v8
	v_fmamk_f32 v10, v11, 0x33a22168, v10
	s_delay_alu instid0(VALU_DEP_2) | instskip(NEXT) | instid1(VALU_DEP_1)
	v_or_b32_e32 v8, v9, v8
	v_fmac_f32_e32 v10, 0x3fc90fda, v8
	s_delay_alu instid0(VALU_DEP_1) | instskip(NEXT) | instid1(VALU_DEP_1)
	v_dual_add_f32 v7, v16, v10 :: v_dual_lshrrev_b32 v8, 30, v7
	v_add_nc_u32_e32 v8, v12, v8
	s_and_not1_saveexec_b32 s0, s2
	s_cbranch_execnz .LBB0_16
	s_branch .LBB0_17
.LBB0_15:
	s_and_not1_saveexec_b32 s0, s2
.LBB0_16:
	v_mul_f32_e64 v7, 0x3f22f983, |v2|
	s_delay_alu instid0(VALU_DEP_1) | instskip(NEXT) | instid1(VALU_DEP_1)
	v_rndne_f32_e32 v8, v7
	v_fma_f32 v7, 0xbfc90fda, v8, |v2|
	s_delay_alu instid0(VALU_DEP_1) | instskip(NEXT) | instid1(VALU_DEP_1)
	v_fmamk_f32 v7, v8, 0xb3a22168, v7
	v_fmamk_f32 v7, v8, 0xa7c234c4, v7
	v_cvt_i32_f32_e32 v8, v8
.LBB0_17:
	s_or_b32 exec_lo, exec_lo, s0
	v_add_f32_e64 v9, 0xbf317218, |v3|
	v_and_b32_e32 v12, 0x7fffffff, v3
	s_mov_b32 s0, 0x3ab42872
	s_mov_b32 s1, -1.0
	s_delay_alu instid0(SALU_CYCLE_1) | instskip(SKIP_3) | instid1(VALU_DEP_2)
	v_mov_b64_e32 v[16:17], s[0:1]
	v_sub_f32_e64 v11, v9, |v3|
	v_mov_b32_e32 v13, 0x3f317218
	s_mov_b32 s1, 0xb94c1982
	v_sub_f32_e32 v10, v11, v9
	s_delay_alu instid0(VALU_DEP_1) | instskip(NEXT) | instid1(VALU_DEP_1)
	v_pk_add_f32 v[10:11], v[12:13], v[10:11]
	v_sub_f32_e32 v10, v10, v11
	s_delay_alu instid0(VALU_DEP_1) | instskip(NEXT) | instid1(VALU_DEP_1)
	v_add_f32_e32 v10, 0x3102e308, v10
	v_add_f32_e32 v11, v9, v10
	s_delay_alu instid0(VALU_DEP_1) | instskip(NEXT) | instid1(VALU_DEP_1)
	v_sub_f32_e32 v9, v9, v11
	v_dual_add_f32 v9, v10, v9 :: v_dual_mul_f32 v12, 0x3fb8aa3b, v11
	s_delay_alu instid0(VALU_DEP_1) | instskip(NEXT) | instid1(VALU_DEP_1)
	v_rndne_f32_e32 v18, v12
	v_mul_f32_e32 v12, 0x35bfbc00, v18
	v_fmamk_f32 v11, v18, 0xbf317200, v11
	s_delay_alu instid0(VALU_DEP_1) | instskip(NEXT) | instid1(VALU_DEP_1)
	v_add_f32_e32 v13, v9, v11
	v_dual_sub_f32 v10, v13, v12 :: v_dual_sub_f32 v11, v11, v13
	s_delay_alu instid0(VALU_DEP_1) | instskip(NEXT) | instid1(VALU_DEP_2)
	v_sub_f32_e32 v13, v13, v10
	v_add_f32_e32 v9, v9, v11
	s_delay_alu instid0(VALU_DEP_2) | instskip(NEXT) | instid1(VALU_DEP_1)
	v_sub_f32_e32 v11, v13, v12
	v_add_f32_e32 v9, v9, v11
	s_delay_alu instid0(VALU_DEP_1) | instskip(NEXT) | instid1(VALU_DEP_1)
	v_add_f32_e32 v11, v10, v9
	v_dual_mul_f32 v13, 0x2ea39ef3, v18 :: v_dual_mov_b32 v12, v11
	s_delay_alu instid0(VALU_DEP_1) | instskip(NEXT) | instid1(VALU_DEP_1)
	v_pk_add_f32 v[14:15], v[10:11], v[12:13] neg_lo:[0,1] neg_hi:[0,1]
	v_dual_sub_f32 v10, v11, v15 :: v_dual_add_f32 v9, v9, v14
	s_delay_alu instid0(VALU_DEP_1) | instskip(NEXT) | instid1(VALU_DEP_1)
	v_sub_f32_e32 v10, v10, v13
	v_add_f32_e32 v9, v9, v10
	s_delay_alu instid0(VALU_DEP_1) | instskip(NEXT) | instid1(VALU_DEP_1)
	v_add_f32_e32 v11, v15, v9
	v_sub_f32_e32 v10, v15, v11
	s_delay_alu instid0(VALU_DEP_1) | instskip(NEXT) | instid1(VALU_DEP_1)
	v_dual_mul_f32 v12, v11, v11 :: v_dual_add_f32 v9, v9, v10
	v_dual_fma_f32 v13, v11, v11, -v12 :: v_dual_add_f32 v14, v9, v9
	v_fmaak_f32 v10, s0, v11, 0x3c091de6
	s_mov_b32 s0, 0x37d75334
	s_delay_alu instid0(VALU_DEP_2) | instskip(NEXT) | instid1(VALU_DEP_2)
	v_fmac_f32_e32 v13, v11, v14
	v_fmaak_f32 v10, v11, v10, 0x3d2aadcc
	s_delay_alu instid0(VALU_DEP_2) | instskip(NEXT) | instid1(VALU_DEP_2)
	v_add_f32_e32 v14, v12, v13
	v_fmaak_f32 v10, v11, v10, 0x3e2aaa47
	s_delay_alu instid0(VALU_DEP_1) | instskip(NEXT) | instid1(VALU_DEP_3)
	v_fmaak_f32 v10, v11, v10, 0x3efffffc
	v_sub_f32_e32 v12, v14, v12
	s_delay_alu instid0(VALU_DEP_1) | instskip(NEXT) | instid1(VALU_DEP_1)
	v_dual_sub_f32 v12, v13, v12 :: v_dual_mul_f32 v15, v10, v14
	v_fma_f32 v13, v14, v10, -v15
	s_delay_alu instid0(VALU_DEP_1) | instskip(NEXT) | instid1(VALU_DEP_1)
	v_fmac_f32_e32 v13, v12, v10
	v_add_f32_e32 v12, v15, v13
	s_delay_alu instid0(VALU_DEP_1) | instskip(NEXT) | instid1(VALU_DEP_1)
	v_dual_add_f32 v10, v11, v12 :: v_dual_sub_f32 v14, v12, v15
	v_dual_sub_f32 v11, v10, v11 :: v_dual_sub_f32 v13, v13, v14
	s_delay_alu instid0(VALU_DEP_1) | instskip(NEXT) | instid1(VALU_DEP_1)
	v_dual_sub_f32 v11, v12, v11 :: v_dual_add_f32 v9, v9, v13
	v_dual_add_f32 v12, v9, v11 :: v_dual_mov_b32 v11, -1.0
	s_delay_alu instid0(VALU_DEP_1) | instskip(NEXT) | instid1(VALU_DEP_1)
	v_add_f32_e32 v14, v10, v12
	v_add_f32_e32 v15, 1.0, v14
	s_delay_alu instid0(VALU_DEP_1) | instskip(NEXT) | instid1(VALU_DEP_4)
	v_pk_add_f32 v[16:17], v[14:15], v[16:17]
	v_pk_add_f32 v[10:11], v[14:15], v[10:11] neg_lo:[0,1] neg_hi:[0,1]
	s_delay_alu instid0(VALU_DEP_2) | instskip(SKIP_1) | instid1(VALU_DEP_2)
	v_dual_mov_b32 v13, v14 :: v_dual_mov_b32 v11, v17
	v_mov_b32_e32 v17, 1.0
	v_pk_add_f32 v[10:11], v[12:13], v[10:11] neg_lo:[0,1] neg_hi:[0,1]
	s_delay_alu instid0(VALU_DEP_1) | instskip(SKIP_1) | instid1(VALU_DEP_2)
	v_add_f32_e32 v9, v10, v11
	v_cvt_i32_f32_e32 v11, v18
	v_add_f32_e32 v12, v15, v9
	s_delay_alu instid0(VALU_DEP_1) | instskip(SKIP_1) | instid1(VALU_DEP_2)
	v_ldexp_f32 v10, v12, v11
	v_sub_f32_e32 v12, v12, v15
	v_rcp_f32_e32 v18, v10
	v_nop
	s_delay_alu instid0(TRANS32_DEP_1) | instskip(NEXT) | instid1(VALU_DEP_1)
	v_dual_sub_f32 v9, v9, v12 :: v_dual_mul_f32 v12, v10, v18
	v_fma_f32 v14, v18, v10, -v12
	s_delay_alu instid0(VALU_DEP_2) | instskip(NEXT) | instid1(VALU_DEP_1)
	v_ldexp_f32 v11, v9, v11
	v_fmac_f32_e32 v14, v18, v11
	s_delay_alu instid0(VALU_DEP_1) | instskip(NEXT) | instid1(VALU_DEP_1)
	v_add_f32_e32 v16, v12, v14
	v_dual_sub_f32 v13, 1.0, v16 :: v_dual_mov_b32 v15, v16
	s_delay_alu instid0(VALU_DEP_1) | instskip(NEXT) | instid1(VALU_DEP_1)
	v_pk_add_f32 v[16:17], v[16:17], v[12:13] neg_lo:[0,1] neg_hi:[0,1]
	v_pk_add_f32 v[14:15], v[16:17], v[14:15] neg_lo:[0,1] neg_hi:[0,1]
	s_delay_alu instid0(VALU_DEP_1) | instskip(NEXT) | instid1(VALU_DEP_1)
	v_add_f32_e32 v9, v14, v15
	v_add_f32_e32 v15, v13, v9
	s_delay_alu instid0(VALU_DEP_1) | instskip(NEXT) | instid1(VALU_DEP_1)
	v_mul_f32_e32 v19, v18, v15
	v_mul_f32_e32 v16, v10, v19
	s_delay_alu instid0(VALU_DEP_1) | instskip(NEXT) | instid1(VALU_DEP_1)
	v_dual_sub_f32 v20, v13, v15 :: v_dual_fma_f32 v12, v19, v10, -v16
	v_dual_add_f32 v9, v9, v20 :: v_dual_fmac_f32 v12, v19, v11
	s_delay_alu instid0(VALU_DEP_1) | instskip(NEXT) | instid1(VALU_DEP_1)
	v_add_f32_e32 v14, v16, v12
	v_dual_sub_f32 v17, v15, v14 :: v_dual_mov_b32 v13, v14
	s_delay_alu instid0(VALU_DEP_1) | instskip(SKIP_1) | instid1(VALU_DEP_2)
	v_pk_add_f32 v[14:15], v[14:15], v[16:17] neg_lo:[0,1] neg_hi:[0,1]
	v_mul_f32_e32 v16, v7, v7
	v_pk_add_f32 v[12:13], v[14:15], v[12:13] neg_lo:[0,1] neg_hi:[0,1]
	v_dual_lshlrev_b32 v14, 30, v6 :: v_dual_bitop2_b32 v6, 1, v6 bitop3:0x40
	v_mul_f32_e32 v15, v5, v5
	s_delay_alu instid0(VALU_DEP_3) | instskip(NEXT) | instid1(VALU_DEP_1)
	v_dual_add_f32 v9, v9, v13 :: v_dual_add_f32 v13, v18, v19
	v_dual_add_f32 v9, v12, v9 :: v_dual_sub_f32 v12, v13, v18
	s_delay_alu instid0(VALU_DEP_1) | instskip(SKIP_1) | instid1(VALU_DEP_2)
	v_dual_add_f32 v9, v17, v9 :: v_dual_sub_f32 v12, v19, v12
	v_dual_lshlrev_b32 v8, 30, v8 :: v_dual_bitop2_b32 v17, 1, v8 bitop3:0x40
	v_dual_mul_f32 v9, v18, v9 :: v_dual_fmaak_f32 v18, s0, v15, 0xbab64f3b
	s_delay_alu instid0(VALU_DEP_2) | instskip(NEXT) | instid1(VALU_DEP_3)
	v_cmp_eq_u32_e32 vcc_lo, 0, v17
	v_bitop3_b32 v23, v4, v8, 0x80000000 bitop3:0x78
	s_delay_alu instid0(VALU_DEP_3) | instskip(NEXT) | instid1(VALU_DEP_1)
	v_add_f32_e32 v9, v12, v9
	v_add_f32_e32 v12, v13, v9
	s_delay_alu instid0(VALU_DEP_1) | instskip(SKIP_2) | instid1(VALU_DEP_2)
	v_sub_f32_e32 v13, v12, v13
	v_ldexp_f32 v12, v12, -2
	v_fmaak_f32 v19, s1, v15, 0x3c0881c4
	v_dual_sub_f32 v9, v9, v13 :: v_dual_sub_f32 v20, v10, v12
	s_delay_alu instid0(VALU_DEP_2) | instskip(SKIP_2) | instid1(VALU_DEP_4)
	v_fmaak_f32 v19, v15, v19, 0xbe2aaa9d
	v_fmaak_f32 v22, s0, v16, 0xbab64f3b
	v_cmp_lt_f32_e64 s0, 0x42b2d4fc, |v3|
	v_ldexp_f32 v13, v9, -2
	s_delay_alu instid0(VALU_DEP_4) | instskip(NEXT) | instid1(VALU_DEP_4)
	v_dual_sub_f32 v4, v10, v20 :: v_dual_mul_f32 v19, v15, v19
	v_fmaak_f32 v22, v16, v22, 0x3d2aabf7
	s_delay_alu instid0(VALU_DEP_3) | instskip(SKIP_1) | instid1(VALU_DEP_2)
	v_pk_add_f32 v[8:9], v[10:11], v[12:13]
	v_fmaak_f32 v21, s1, v16, 0x3c0881c4
	v_dual_fmac_f32 v5, v5, v19 :: v_dual_sub_f32 v10, v8, v10
	s_delay_alu instid0(VALU_DEP_1) | instskip(NEXT) | instid1(VALU_DEP_1)
	v_sub_f32_e32 v10, v12, v10
	v_dual_sub_f32 v4, v4, v12 :: v_dual_add_f32 v9, v9, v10
	s_delay_alu instid0(VALU_DEP_1) | instskip(NEXT) | instid1(VALU_DEP_1)
	v_dual_fmaak_f32 v21, v16, v21, 0xbe2aaa9d :: v_dual_add_f32 v4, v11, v4
	v_dual_fmaak_f32 v18, v15, v18, 0x3d2aabf7 :: v_dual_mul_f32 v11, v16, v21
	s_delay_alu instid0(VALU_DEP_1) | instskip(NEXT) | instid1(VALU_DEP_1)
	v_dual_fmac_f32 v7, v7, v11 :: v_dual_fmaak_f32 v12, v16, v22, 0xbf000004
	v_fma_f32 v10, v16, v12, 1.0
	s_delay_alu instid0(VALU_DEP_1) | instskip(SKIP_3) | instid1(VALU_DEP_4)
	v_cndmask_b32_e32 v7, v10, v7, vcc_lo
	v_cmp_eq_u32_e32 vcc_lo, 0, v6
	v_sub_f32_e32 v4, v4, v13
	v_fmaak_f32 v18, v15, v18, 0xbf000004
	v_xor3_b32 v7, v23, v7, v2
	s_delay_alu instid0(VALU_DEP_3) | instskip(NEXT) | instid1(VALU_DEP_3)
	v_add_f32_e32 v11, v20, v4
	v_fma_f32 v15, v15, v18, 1.0
	v_add_f32_e32 v4, v8, v9
	s_delay_alu instid0(VALU_DEP_3) | instskip(NEXT) | instid1(VALU_DEP_3)
	v_cndmask_b32_e64 v6, v11, 0x7f800000, s0
	v_cndmask_b32_e64 v5, -v5, v15, vcc_lo
	s_delay_alu instid0(VALU_DEP_3) | instskip(SKIP_2) | instid1(VALU_DEP_4)
	v_cndmask_b32_e64 v4, v4, 0x7f800000, s0
	v_cmp_gt_f32_e64 s0, 0x39800000, |v3|
	v_cmp_class_f32_e64 vcc_lo, v2, 0x1f8
	v_bitop3_b32 v5, v14, v5, 0x80000000 bitop3:0x6c
	s_delay_alu instid0(VALU_DEP_3) | instskip(NEXT) | instid1(VALU_DEP_3)
	v_cndmask_b32_e64 v8, v6, |v3|, s0
	v_cndmask_b32_e64 v7, 0xffc00000, -v7, vcc_lo
	s_delay_alu instid0(VALU_DEP_3) | instskip(NEXT) | instid1(VALU_DEP_3)
	v_cndmask_b32_e32 v6, 0x7fc00000, v5, vcc_lo
	v_bfi_b32 v5, 0x7fffffff, v8, v3
	s_delay_alu instid0(VALU_DEP_1)
	v_pk_mul_f32 v[4:5], v[4:5], v[6:7]
	s_cbranch_execnz .LBB0_27
.LBB0_18:
	s_wait_loadcnt 0x0
	v_and_b32_e32 v4, 0x7fffffff, v2
	v_cmp_ngt_f32_e64 s2, 0x48000000, |v2|
                                        ; implicit-def: $vgpr6
                                        ; implicit-def: $vgpr5
	s_delay_alu instid0(VALU_DEP_2) | instskip(SKIP_1) | instid1(SALU_CYCLE_1)
	v_lshrrev_b32_e32 v9, 23, v4
	s_and_saveexec_b32 s0, s2
	s_xor_b32 s3, exec_lo, s0
	s_cbranch_execz .LBB0_20
; %bb.19:
	s_mov_b32 s0, 0x7fffff
	v_mov_b32_e32 v7, 0
	v_and_or_b32 v6, v4, s0, 0x800000
	s_mov_b64 s[0:1], 0xfe5163ab
	v_add_nc_u32_e32 v5, 0xffffff88, v9
	s_delay_alu instid0(VALU_DEP_2) | instskip(NEXT) | instid1(VALU_DEP_2)
	v_mul_u64_e32 v[10:11], s[0:1], v[6:7]
	v_cmp_lt_u32_e32 vcc_lo, 63, v5
	v_cndmask_b32_e64 v8, 0, 0xffffffc0, vcc_lo
	s_delay_alu instid0(VALU_DEP_3) | instskip(SKIP_2) | instid1(VALU_DEP_3)
	v_dual_mov_b32 v12, v11 :: v_dual_mov_b32 v13, v7
	v_dual_mov_b32 v15, v7 :: v_dual_mov_b32 v17, v7
	;; [unrolled: 1-line block ×3, first 2 shown]
	v_mad_nc_u64_u32 v[12:13], 0x3c439041, v6, v[12:13]
	v_dual_add_nc_u32 v5, v8, v5 :: v_dual_mov_b32 v23, v7
	s_delay_alu instid0(VALU_DEP_1) | instskip(NEXT) | instid1(VALU_DEP_3)
	v_cmp_lt_u32_e64 s0, 31, v5
	v_mov_b32_e32 v14, v13
	s_delay_alu instid0(VALU_DEP_2) | instskip(NEXT) | instid1(VALU_DEP_2)
	v_cndmask_b32_e64 v8, 0, 0xffffffe0, s0
	v_mad_nc_u64_u32 v[14:15], 0xdb629599, v6, v[14:15]
	s_delay_alu instid0(VALU_DEP_2) | instskip(NEXT) | instid1(VALU_DEP_1)
	v_add_nc_u32_e32 v5, v8, v5
	v_cmp_lt_u32_e64 s1, 31, v5
	s_delay_alu instid0(VALU_DEP_3) | instskip(NEXT) | instid1(VALU_DEP_2)
	v_mov_b32_e32 v16, v15
	v_cndmask_b32_e64 v8, 0, 0xffffffe0, s1
	s_delay_alu instid0(VALU_DEP_2) | instskip(NEXT) | instid1(VALU_DEP_1)
	v_mad_nc_u64_u32 v[16:17], 0xf534ddc0, v6, v[16:17]
	v_mov_b32_e32 v18, v17
	s_delay_alu instid0(VALU_DEP_1) | instskip(NEXT) | instid1(VALU_DEP_1)
	v_mad_nc_u64_u32 v[18:19], 0xfc2757d1, v6, v[18:19]
	v_dual_mov_b32 v20, v19 :: v_dual_cndmask_b32 v13, v18, v14
	s_delay_alu instid0(VALU_DEP_1) | instskip(NEXT) | instid1(VALU_DEP_1)
	v_mad_nc_u64_u32 v[20:21], 0x4e441529, v6, v[20:21]
	v_mov_b32_e32 v22, v21
	s_delay_alu instid0(VALU_DEP_1) | instskip(NEXT) | instid1(VALU_DEP_1)
	v_mad_nc_u64_u32 v[6:7], 0xa2f9836e, v6, v[22:23]
	v_dual_cndmask_b32 v11, v20, v16 :: v_dual_cndmask_b32 v6, v6, v18
	s_delay_alu instid0(VALU_DEP_2) | instskip(NEXT) | instid1(VALU_DEP_2)
	v_dual_cndmask_b32 v7, v7, v20, vcc_lo :: v_dual_add_nc_u32 v5, v8, v5
	v_dual_cndmask_b32 v8, v16, v12, vcc_lo :: v_dual_cndmask_b32 v12, v6, v11, s0
	s_delay_alu instid0(VALU_DEP_2) | instskip(NEXT) | instid1(VALU_DEP_2)
	v_cndmask_b32_e64 v6, v7, v6, s0
	v_dual_cndmask_b32 v7, v11, v13, s0 :: v_dual_cndmask_b32 v13, v13, v8, s0
	s_delay_alu instid0(VALU_DEP_2) | instskip(NEXT) | instid1(VALU_DEP_2)
	v_dual_sub_nc_u32 v11, 32, v5 :: v_dual_cndmask_b32 v6, v6, v12, s1
	v_dual_cndmask_b32 v12, v12, v7, s1 :: v_dual_cndmask_b32 v7, v7, v13, s1
	v_cndmask_b32_e32 v10, v14, v10, vcc_lo
	v_cmp_eq_u32_e32 vcc_lo, 0, v5
	s_delay_alu instid0(VALU_DEP_3) | instskip(NEXT) | instid1(VALU_DEP_4)
	v_alignbit_b32 v15, v6, v12, v11
	v_alignbit_b32 v14, v12, v7, v11
	s_delay_alu instid0(VALU_DEP_2) | instskip(NEXT) | instid1(VALU_DEP_2)
	v_cndmask_b32_e32 v5, v15, v6, vcc_lo
	v_dual_cndmask_b32 v6, v8, v10, s0 :: v_dual_cndmask_b32 v8, v14, v12, vcc_lo
	s_delay_alu instid0(VALU_DEP_1) | instskip(NEXT) | instid1(VALU_DEP_3)
	v_cndmask_b32_e64 v6, v13, v6, s1
	v_bfe_u32 v10, v5, 29, 1
	s_delay_alu instid0(VALU_DEP_3) | instskip(NEXT) | instid1(VALU_DEP_3)
	v_alignbit_b32 v12, v5, v8, 30
	v_alignbit_b32 v11, v7, v6, v11
	s_delay_alu instid0(VALU_DEP_1) | instskip(NEXT) | instid1(VALU_DEP_1)
	v_dual_sub_nc_u32 v13, 0, v10 :: v_dual_cndmask_b32 v7, v11, v7, vcc_lo
	v_xor_b32_e32 v12, v12, v13
	s_delay_alu instid0(VALU_DEP_2) | instskip(NEXT) | instid1(VALU_DEP_2)
	v_alignbit_b32 v8, v8, v7, 30
	v_clz_i32_u32_e32 v11, v12
	v_alignbit_b32 v6, v7, v6, 30
	s_delay_alu instid0(VALU_DEP_2) | instskip(NEXT) | instid1(VALU_DEP_4)
	v_min_u32_e32 v11, 32, v11
	v_xor_b32_e32 v7, v8, v13
	s_delay_alu instid0(VALU_DEP_3) | instskip(NEXT) | instid1(VALU_DEP_3)
	v_xor_b32_e32 v6, v6, v13
	v_dual_lshrrev_b32 v13, 29, v5 :: v_dual_lshlrev_b32 v14, 23, v11
	v_sub_nc_u32_e32 v8, 31, v11
	s_delay_alu instid0(VALU_DEP_1) | instskip(NEXT) | instid1(VALU_DEP_4)
	v_alignbit_b32 v12, v12, v7, v8
	v_alignbit_b32 v6, v7, v6, v8
	s_delay_alu instid0(VALU_DEP_4) | instskip(NEXT) | instid1(VALU_DEP_2)
	v_lshlrev_b32_e32 v7, 31, v13
	v_alignbit_b32 v8, v12, v6, 9
	s_delay_alu instid0(VALU_DEP_2) | instskip(SKIP_1) | instid1(VALU_DEP_3)
	v_dual_lshrrev_b32 v12, 9, v12 :: v_dual_bitop2_b32 v13, 0.5, v7 bitop3:0x54
	v_or_b32_e32 v7, 0x33000000, v7
	v_clz_i32_u32_e32 v15, v8
	s_delay_alu instid0(VALU_DEP_3) | instskip(NEXT) | instid1(VALU_DEP_2)
	v_sub_nc_u32_e32 v13, v13, v14
	v_min_u32_e32 v14, 32, v15
	s_delay_alu instid0(VALU_DEP_1) | instskip(NEXT) | instid1(VALU_DEP_1)
	v_add_lshl_u32 v11, v14, v11, 23
	v_dual_sub_nc_u32 v7, v7, v11 :: v_dual_bitop2_b32 v12, v12, v13 bitop3:0x54
	v_not_b32_e32 v13, v14
	s_delay_alu instid0(VALU_DEP_1) | instskip(NEXT) | instid1(VALU_DEP_1)
	v_alignbit_b32 v6, v8, v6, v13
	v_lshrrev_b32_e32 v6, 9, v6
	s_delay_alu instid0(VALU_DEP_1) | instskip(SKIP_1) | instid1(VALU_DEP_1)
	v_or_b32_e32 v6, v7, v6
	v_mul_f32_e32 v15, 0x3fc90fda, v12
	v_fma_f32 v8, 0x3fc90fda, v12, -v15
	s_delay_alu instid0(VALU_DEP_1) | instskip(NEXT) | instid1(VALU_DEP_1)
	v_fmamk_f32 v8, v12, 0x33a22168, v8
	v_fmac_f32_e32 v8, 0x3fc90fda, v6
	s_delay_alu instid0(VALU_DEP_1) | instskip(NEXT) | instid1(VALU_DEP_1)
	v_dual_add_f32 v5, v15, v8 :: v_dual_lshrrev_b32 v6, 30, v5
	v_add_nc_u32_e32 v6, v10, v6
	s_or_saveexec_b32 s0, s3
	v_mul_f32_e64 v10, 0x3f22f983, |v2|
	s_xor_b32 exec_lo, exec_lo, s0
	s_branch .LBB0_21
.LBB0_20:
	s_or_saveexec_b32 s0, s3
	v_mul_f32_e64 v10, 0x3f22f983, |v2|
	s_xor_b32 exec_lo, exec_lo, s0
.LBB0_21:
	s_delay_alu instid0(VALU_DEP_1) | instskip(NEXT) | instid1(VALU_DEP_1)
	v_rndne_f32_e32 v6, v10
	v_fma_f32 v5, 0xbfc90fda, v6, |v2|
	s_delay_alu instid0(VALU_DEP_1) | instskip(NEXT) | instid1(VALU_DEP_1)
	v_fmamk_f32 v5, v6, 0xb3a22168, v5
	v_fmamk_f32 v5, v6, 0xa7c234c4, v5
	v_cvt_i32_f32_e32 v6, v6
; %bb.22:
	s_or_b32 exec_lo, exec_lo, s0
                                        ; implicit-def: $vgpr8
                                        ; implicit-def: $vgpr7
	s_and_saveexec_b32 s0, s2
	s_delay_alu instid0(SALU_CYCLE_1)
	s_xor_b32 s2, exec_lo, s0
	s_cbranch_execz .LBB0_24
; %bb.23:
	s_mov_b32 s0, 0x7fffff
	v_mov_b32_e32 v11, 0
	v_and_or_b32 v10, v4, s0, 0x800000
	s_mov_b64 s[0:1], 0xfe5163ab
	v_add_nc_u32_e32 v7, 0xffffff88, v9
	s_delay_alu instid0(VALU_DEP_2) | instskip(NEXT) | instid1(VALU_DEP_2)
	v_mul_u64_e32 v[12:13], s[0:1], v[10:11]
	v_cmp_lt_u32_e32 vcc_lo, 63, v7
	s_delay_alu instid0(VALU_DEP_2) | instskip(SKIP_2) | instid1(VALU_DEP_3)
	v_dual_mov_b32 v14, v13 :: v_dual_mov_b32 v15, v11
	v_dual_mov_b32 v17, v11 :: v_dual_mov_b32 v19, v11
	;; [unrolled: 1-line block ×3, first 2 shown]
	v_mad_nc_u64_u32 v[14:15], 0x3c439041, v10, v[14:15]
	v_cndmask_b32_e64 v13, 0, 0xffffffc0, vcc_lo
	s_delay_alu instid0(VALU_DEP_2) | instskip(NEXT) | instid1(VALU_DEP_1)
	v_mov_b32_e32 v16, v15
	v_mad_nc_u64_u32 v[16:17], 0xdb629599, v10, v[16:17]
	s_delay_alu instid0(VALU_DEP_1) | instskip(NEXT) | instid1(VALU_DEP_1)
	v_dual_mov_b32 v18, v17 :: v_dual_cndmask_b32 v12, v16, v12, vcc_lo
	v_mad_nc_u64_u32 v[18:19], 0xf534ddc0, v10, v[18:19]
	s_delay_alu instid0(VALU_DEP_1) | instskip(NEXT) | instid1(VALU_DEP_1)
	v_mov_b32_e32 v20, v19
	v_mad_nc_u64_u32 v[20:21], 0xfc2757d1, v10, v[20:21]
	s_delay_alu instid0(VALU_DEP_1) | instskip(NEXT) | instid1(VALU_DEP_1)
	v_mov_b32_e32 v22, v21
	v_mad_nc_u64_u32 v[8:9], 0x4e441529, v10, v[22:23]
	s_delay_alu instid0(VALU_DEP_1) | instskip(NEXT) | instid1(VALU_DEP_1)
	v_dual_add_nc_u32 v7, v13, v7 :: v_dual_cndmask_b32 v13, v8, v18, vcc_lo
	v_cmp_lt_u32_e64 s0, 31, v7
	s_delay_alu instid0(VALU_DEP_3) | instskip(NEXT) | instid1(VALU_DEP_2)
	v_mov_b32_e32 v22, v9
	v_cndmask_b32_e64 v9, 0, 0xffffffe0, s0
	s_delay_alu instid0(VALU_DEP_1) | instskip(NEXT) | instid1(VALU_DEP_3)
	v_add_nc_u32_e32 v7, v9, v7
	v_mad_nc_u64_u32 v[10:11], 0xa2f9836e, v10, v[22:23]
	s_delay_alu instid0(VALU_DEP_2) | instskip(NEXT) | instid1(VALU_DEP_1)
	v_cmp_lt_u32_e64 s1, 31, v7
	v_cndmask_b32_e64 v9, 0, 0xffffffe0, s1
	s_delay_alu instid0(VALU_DEP_3) | instskip(NEXT) | instid1(VALU_DEP_2)
	v_cndmask_b32_e32 v10, v10, v20, vcc_lo
	v_dual_cndmask_b32 v8, v11, v8 :: v_dual_add_nc_u32 v7, v9, v7
	v_dual_cndmask_b32 v11, v20, v16, vcc_lo :: v_dual_cndmask_b32 v9, v18, v14, vcc_lo
	s_delay_alu instid0(VALU_DEP_2) | instskip(NEXT) | instid1(VALU_DEP_3)
	v_dual_cndmask_b32 v14, v10, v13, s0 :: v_dual_cndmask_b32 v8, v8, v10, s0
	v_cmp_eq_u32_e32 vcc_lo, 0, v7
	s_delay_alu instid0(VALU_DEP_3) | instskip(NEXT) | instid1(VALU_DEP_4)
	v_cndmask_b32_e64 v10, v13, v11, s0
	v_dual_sub_nc_u32 v13, 32, v7 :: v_dual_cndmask_b32 v11, v11, v9, s0
	s_delay_alu instid0(VALU_DEP_4) | instskip(NEXT) | instid1(VALU_DEP_3)
	v_cndmask_b32_e64 v8, v8, v14, s1
	v_cndmask_b32_e64 v14, v14, v10, s1
	s_delay_alu instid0(VALU_DEP_3) | instskip(NEXT) | instid1(VALU_DEP_2)
	v_cndmask_b32_e64 v10, v10, v11, s1
	v_alignbit_b32 v15, v8, v14, v13
	s_delay_alu instid0(VALU_DEP_2) | instskip(NEXT) | instid1(VALU_DEP_2)
	v_alignbit_b32 v16, v14, v10, v13
	v_cndmask_b32_e32 v7, v15, v8, vcc_lo
	s_delay_alu instid0(VALU_DEP_2) | instskip(NEXT) | instid1(VALU_DEP_2)
	v_dual_cndmask_b32 v8, v9, v12, s0 :: v_dual_cndmask_b32 v9, v16, v14, vcc_lo
	v_bfe_u32 v12, v7, 29, 1
	s_delay_alu instid0(VALU_DEP_1) | instskip(NEXT) | instid1(VALU_DEP_3)
	v_sub_nc_u32_e32 v14, 0, v12
	v_cndmask_b32_e64 v8, v11, v8, s1
	s_delay_alu instid0(VALU_DEP_4) | instskip(NEXT) | instid1(VALU_DEP_1)
	v_alignbit_b32 v11, v7, v9, 30
	v_xor_b32_e32 v11, v11, v14
	s_delay_alu instid0(VALU_DEP_3) | instskip(NEXT) | instid1(VALU_DEP_1)
	v_alignbit_b32 v13, v10, v8, v13
	v_cndmask_b32_e32 v10, v13, v10, vcc_lo
	s_delay_alu instid0(VALU_DEP_3) | instskip(NEXT) | instid1(VALU_DEP_2)
	v_clz_i32_u32_e32 v13, v11
	v_alignbit_b32 v9, v9, v10, 30
	s_delay_alu instid0(VALU_DEP_2) | instskip(SKIP_1) | instid1(VALU_DEP_2)
	v_min_u32_e32 v13, 32, v13
	v_alignbit_b32 v8, v10, v8, 30
	v_dual_sub_nc_u32 v10, 31, v13 :: v_dual_bitop2_b32 v9, v9, v14 bitop3:0x14
	s_delay_alu instid0(VALU_DEP_2) | instskip(NEXT) | instid1(VALU_DEP_2)
	v_dual_lshrrev_b32 v14, 29, v7 :: v_dual_bitop2_b32 v8, v8, v14 bitop3:0x14
	v_alignbit_b32 v11, v11, v9, v10
	s_delay_alu instid0(VALU_DEP_2) | instskip(NEXT) | instid1(VALU_DEP_3)
	v_alignbit_b32 v8, v9, v8, v10
	v_lshlrev_b32_e32 v9, 31, v14
	s_delay_alu instid0(VALU_DEP_2) | instskip(NEXT) | instid1(VALU_DEP_2)
	v_alignbit_b32 v10, v11, v8, 9
	v_dual_lshrrev_b32 v11, 9, v11 :: v_dual_bitop2_b32 v14, 0.5, v9 bitop3:0x54
	v_lshlrev_b32_e32 v15, 23, v13
	v_or_b32_e32 v9, 0x33000000, v9
	s_delay_alu instid0(VALU_DEP_4) | instskip(NEXT) | instid1(VALU_DEP_3)
	v_clz_i32_u32_e32 v16, v10
	v_sub_nc_u32_e32 v14, v14, v15
	s_delay_alu instid0(VALU_DEP_2) | instskip(NEXT) | instid1(VALU_DEP_1)
	v_min_u32_e32 v15, 32, v16
	v_add_lshl_u32 v13, v15, v13, 23
	s_delay_alu instid0(VALU_DEP_1) | instskip(SKIP_1) | instid1(VALU_DEP_2)
	v_dual_sub_nc_u32 v9, v9, v13 :: v_dual_bitop2_b32 v11, v11, v14 bitop3:0x54
	v_not_b32_e32 v14, v15
	v_mul_f32_e32 v16, 0x3fc90fda, v11
	s_delay_alu instid0(VALU_DEP_2) | instskip(NEXT) | instid1(VALU_DEP_2)
	v_alignbit_b32 v8, v10, v8, v14
	v_fma_f32 v10, 0x3fc90fda, v11, -v16
	s_delay_alu instid0(VALU_DEP_2) | instskip(NEXT) | instid1(VALU_DEP_2)
	v_lshrrev_b32_e32 v8, 9, v8
	v_fmamk_f32 v10, v11, 0x33a22168, v10
	s_delay_alu instid0(VALU_DEP_2) | instskip(NEXT) | instid1(VALU_DEP_1)
	v_or_b32_e32 v8, v9, v8
	v_fmac_f32_e32 v10, 0x3fc90fda, v8
	s_delay_alu instid0(VALU_DEP_1) | instskip(NEXT) | instid1(VALU_DEP_1)
	v_dual_add_f32 v7, v16, v10 :: v_dual_lshrrev_b32 v8, 30, v7
	v_add_nc_u32_e32 v8, v12, v8
                                        ; implicit-def: $vgpr10
	s_and_not1_saveexec_b32 s0, s2
	s_cbranch_execnz .LBB0_25
	s_branch .LBB0_26
.LBB0_24:
	s_and_not1_saveexec_b32 s0, s2
.LBB0_25:
	v_rndne_f32_e32 v8, v10
	s_delay_alu instid0(VALU_DEP_1) | instskip(NEXT) | instid1(VALU_DEP_1)
	v_fma_f32 v7, 0xbfc90fda, v8, |v2|
	v_fmamk_f32 v7, v8, 0xb3a22168, v7
	s_delay_alu instid0(VALU_DEP_1)
	v_fmamk_f32 v7, v8, 0xa7c234c4, v7
	v_cvt_i32_f32_e32 v8, v8
.LBB0_26:
	s_or_b32 exec_lo, exec_lo, s0
	v_add_f32_e64 v9, 0xbf317218, |v3|
	v_and_b32_e32 v12, 0x7fffffff, v3
	s_mov_b32 s0, 0x3ab42872
	s_mov_b32 s1, -1.0
	s_delay_alu instid0(SALU_CYCLE_1) | instskip(SKIP_3) | instid1(VALU_DEP_2)
	v_mov_b64_e32 v[16:17], s[0:1]
	v_sub_f32_e64 v11, v9, |v3|
	v_mov_b32_e32 v13, 0x3f317218
	s_mov_b32 s1, 0x37d75334
	v_sub_f32_e32 v10, v11, v9
	s_delay_alu instid0(VALU_DEP_1) | instskip(NEXT) | instid1(VALU_DEP_1)
	v_pk_add_f32 v[10:11], v[12:13], v[10:11]
	v_sub_f32_e32 v10, v10, v11
	s_delay_alu instid0(VALU_DEP_1) | instskip(NEXT) | instid1(VALU_DEP_1)
	v_add_f32_e32 v10, 0x3102e308, v10
	v_add_f32_e32 v11, v9, v10
	s_delay_alu instid0(VALU_DEP_1) | instskip(NEXT) | instid1(VALU_DEP_1)
	v_sub_f32_e32 v9, v9, v11
	v_dual_add_f32 v9, v10, v9 :: v_dual_mul_f32 v12, 0x3fb8aa3b, v11
	s_delay_alu instid0(VALU_DEP_1) | instskip(NEXT) | instid1(VALU_DEP_1)
	v_rndne_f32_e32 v18, v12
	v_mul_f32_e32 v12, 0x35bfbc00, v18
	v_fmamk_f32 v11, v18, 0xbf317200, v11
	s_delay_alu instid0(VALU_DEP_1) | instskip(NEXT) | instid1(VALU_DEP_1)
	v_add_f32_e32 v13, v9, v11
	v_dual_sub_f32 v10, v13, v12 :: v_dual_sub_f32 v11, v11, v13
	s_delay_alu instid0(VALU_DEP_1) | instskip(NEXT) | instid1(VALU_DEP_2)
	v_sub_f32_e32 v13, v13, v10
	v_add_f32_e32 v9, v9, v11
	s_delay_alu instid0(VALU_DEP_2) | instskip(NEXT) | instid1(VALU_DEP_1)
	v_sub_f32_e32 v11, v13, v12
	v_add_f32_e32 v9, v9, v11
	s_delay_alu instid0(VALU_DEP_1) | instskip(NEXT) | instid1(VALU_DEP_1)
	v_add_f32_e32 v11, v10, v9
	v_dual_mul_f32 v13, 0x2ea39ef3, v18 :: v_dual_mov_b32 v12, v11
	s_delay_alu instid0(VALU_DEP_1) | instskip(NEXT) | instid1(VALU_DEP_1)
	v_pk_add_f32 v[14:15], v[10:11], v[12:13] neg_lo:[0,1] neg_hi:[0,1]
	v_dual_sub_f32 v10, v11, v15 :: v_dual_add_f32 v9, v9, v14
	s_delay_alu instid0(VALU_DEP_1) | instskip(NEXT) | instid1(VALU_DEP_1)
	v_sub_f32_e32 v10, v10, v13
	v_add_f32_e32 v9, v9, v10
	s_delay_alu instid0(VALU_DEP_1) | instskip(NEXT) | instid1(VALU_DEP_1)
	v_add_f32_e32 v11, v15, v9
	v_sub_f32_e32 v10, v15, v11
	s_delay_alu instid0(VALU_DEP_1) | instskip(NEXT) | instid1(VALU_DEP_1)
	v_dual_mul_f32 v12, v11, v11 :: v_dual_add_f32 v9, v9, v10
	v_dual_fma_f32 v13, v11, v11, -v12 :: v_dual_add_f32 v14, v9, v9
	v_fmaak_f32 v10, s0, v11, 0x3c091de6
	s_mov_b32 s0, 0xb94c1982
	s_delay_alu instid0(VALU_DEP_2) | instskip(NEXT) | instid1(VALU_DEP_2)
	v_fmac_f32_e32 v13, v11, v14
	v_fmaak_f32 v10, v11, v10, 0x3d2aadcc
	s_delay_alu instid0(VALU_DEP_2) | instskip(NEXT) | instid1(VALU_DEP_2)
	v_add_f32_e32 v14, v12, v13
	v_fmaak_f32 v10, v11, v10, 0x3e2aaa47
	s_delay_alu instid0(VALU_DEP_1) | instskip(NEXT) | instid1(VALU_DEP_3)
	v_fmaak_f32 v10, v11, v10, 0x3efffffc
	v_sub_f32_e32 v12, v14, v12
	s_delay_alu instid0(VALU_DEP_1) | instskip(NEXT) | instid1(VALU_DEP_1)
	v_dual_sub_f32 v12, v13, v12 :: v_dual_mul_f32 v15, v10, v14
	v_fma_f32 v13, v14, v10, -v15
	s_delay_alu instid0(VALU_DEP_1) | instskip(NEXT) | instid1(VALU_DEP_1)
	v_fmac_f32_e32 v13, v12, v10
	v_add_f32_e32 v12, v15, v13
	s_delay_alu instid0(VALU_DEP_1) | instskip(NEXT) | instid1(VALU_DEP_1)
	v_dual_add_f32 v10, v11, v12 :: v_dual_sub_f32 v14, v12, v15
	v_dual_sub_f32 v11, v10, v11 :: v_dual_sub_f32 v13, v13, v14
	s_delay_alu instid0(VALU_DEP_1) | instskip(NEXT) | instid1(VALU_DEP_1)
	v_dual_sub_f32 v11, v12, v11 :: v_dual_add_f32 v9, v9, v13
	v_dual_add_f32 v12, v9, v11 :: v_dual_mov_b32 v11, -1.0
	s_delay_alu instid0(VALU_DEP_1) | instskip(NEXT) | instid1(VALU_DEP_1)
	v_add_f32_e32 v14, v10, v12
	v_add_f32_e32 v15, 1.0, v14
	s_delay_alu instid0(VALU_DEP_1) | instskip(NEXT) | instid1(VALU_DEP_4)
	v_pk_add_f32 v[16:17], v[14:15], v[16:17]
	v_pk_add_f32 v[10:11], v[14:15], v[10:11] neg_lo:[0,1] neg_hi:[0,1]
	s_delay_alu instid0(VALU_DEP_2) | instskip(SKIP_1) | instid1(VALU_DEP_2)
	v_dual_mov_b32 v13, v14 :: v_dual_mov_b32 v11, v17
	v_mov_b32_e32 v17, 1.0
	v_pk_add_f32 v[10:11], v[12:13], v[10:11] neg_lo:[0,1] neg_hi:[0,1]
	s_delay_alu instid0(VALU_DEP_1) | instskip(SKIP_1) | instid1(VALU_DEP_2)
	v_add_f32_e32 v9, v10, v11
	v_cvt_i32_f32_e32 v11, v18
	v_add_f32_e32 v12, v15, v9
	s_delay_alu instid0(VALU_DEP_1) | instskip(SKIP_1) | instid1(VALU_DEP_2)
	v_ldexp_f32 v10, v12, v11
	v_sub_f32_e32 v12, v12, v15
	v_rcp_f32_e32 v18, v10
	v_nop
	s_delay_alu instid0(TRANS32_DEP_1) | instskip(NEXT) | instid1(VALU_DEP_1)
	v_dual_sub_f32 v9, v9, v12 :: v_dual_mul_f32 v12, v10, v18
	v_fma_f32 v14, v18, v10, -v12
	s_delay_alu instid0(VALU_DEP_2) | instskip(NEXT) | instid1(VALU_DEP_1)
	v_ldexp_f32 v11, v9, v11
	v_fmac_f32_e32 v14, v18, v11
	s_delay_alu instid0(VALU_DEP_1) | instskip(NEXT) | instid1(VALU_DEP_1)
	v_add_f32_e32 v16, v12, v14
	v_dual_sub_f32 v13, 1.0, v16 :: v_dual_mov_b32 v15, v16
	s_delay_alu instid0(VALU_DEP_1) | instskip(NEXT) | instid1(VALU_DEP_1)
	v_pk_add_f32 v[16:17], v[16:17], v[12:13] neg_lo:[0,1] neg_hi:[0,1]
	v_pk_add_f32 v[14:15], v[16:17], v[14:15] neg_lo:[0,1] neg_hi:[0,1]
	s_delay_alu instid0(VALU_DEP_1) | instskip(NEXT) | instid1(VALU_DEP_1)
	v_add_f32_e32 v9, v14, v15
	v_add_f32_e32 v15, v13, v9
	s_delay_alu instid0(VALU_DEP_1) | instskip(NEXT) | instid1(VALU_DEP_1)
	v_mul_f32_e32 v19, v18, v15
	v_mul_f32_e32 v16, v10, v19
	s_delay_alu instid0(VALU_DEP_1) | instskip(NEXT) | instid1(VALU_DEP_1)
	v_dual_sub_f32 v20, v13, v15 :: v_dual_fma_f32 v12, v19, v10, -v16
	v_dual_add_f32 v9, v9, v20 :: v_dual_fmac_f32 v12, v19, v11
	s_delay_alu instid0(VALU_DEP_1) | instskip(NEXT) | instid1(VALU_DEP_1)
	v_add_f32_e32 v14, v16, v12
	v_dual_sub_f32 v17, v15, v14 :: v_dual_mov_b32 v13, v14
	s_delay_alu instid0(VALU_DEP_1) | instskip(SKIP_1) | instid1(VALU_DEP_2)
	v_pk_add_f32 v[14:15], v[14:15], v[16:17] neg_lo:[0,1] neg_hi:[0,1]
	v_mul_f32_e32 v16, v7, v7
	v_pk_add_f32 v[12:13], v[14:15], v[12:13] neg_lo:[0,1] neg_hi:[0,1]
	v_mul_f32_e32 v14, v5, v5
	s_delay_alu instid0(VALU_DEP_2) | instskip(NEXT) | instid1(VALU_DEP_1)
	v_dual_fmaak_f32 v20, s1, v16, 0xbab64f3b :: v_dual_add_f32 v9, v9, v13
	v_dual_add_f32 v13, v18, v19 :: v_dual_fmaak_f32 v20, v16, v20, 0x3d2aabf7
	s_delay_alu instid0(VALU_DEP_1) | instskip(NEXT) | instid1(VALU_DEP_1)
	v_dual_add_f32 v9, v12, v9 :: v_dual_sub_f32 v12, v13, v18
	v_dual_fmaak_f32 v20, v16, v20, 0xbf000004 :: v_dual_add_f32 v9, v17, v9
	s_delay_alu instid0(VALU_DEP_2) | instskip(NEXT) | instid1(VALU_DEP_2)
	v_sub_f32_e32 v12, v19, v12
	v_dual_mul_f32 v9, v18, v9 :: v_dual_bitop2_b32 v17, 1, v8 bitop3:0x40
	s_delay_alu instid0(VALU_DEP_1) | instskip(SKIP_1) | instid1(VALU_DEP_2)
	v_dual_add_f32 v9, v12, v9 :: v_dual_lshlrev_b32 v18, 30, v8
	v_dual_lshlrev_b32 v12, 30, v6 :: v_dual_bitop2_b32 v6, 1, v6 bitop3:0x40
	v_and_b32_e32 v18, 0x80000000, v18
	s_delay_alu instid0(VALU_DEP_3) | instskip(NEXT) | instid1(VALU_DEP_3)
	v_add_f32_e32 v15, v13, v9
	v_and_b32_e32 v19, 0x80000000, v12
	s_delay_alu instid0(VALU_DEP_4) | instskip(NEXT) | instid1(VALU_DEP_3)
	v_cmp_eq_u32_e32 vcc_lo, 0, v6
	v_dual_sub_f32 v13, v15, v13 :: v_dual_fmaak_f32 v12, s0, v14, 0x3c0881c4
	v_ldexp_f32 v8, v15, -2
	s_delay_alu instid0(VALU_DEP_2) | instskip(SKIP_1) | instid1(VALU_DEP_3)
	v_sub_f32_e32 v9, v9, v13
	v_fmaak_f32 v13, s1, v14, 0xbab64f3b
	v_sub_f32_e32 v21, v10, v8
	v_fmaak_f32 v15, s0, v16, 0x3c0881c4
	v_cmp_lt_f32_e64 s0, 0x42b2d4fc, |v3|
	v_ldexp_f32 v9, v9, -2
	v_fmaak_f32 v23, v14, v13, 0x3d2aabf7
	v_sub_f32_e32 v24, v10, v21
	v_dual_fmaak_f32 v22, v14, v12, 0xbe2aaa9d :: v_dual_fmaak_f32 v15, v16, v15, 0xbe2aaa9d
	s_delay_alu instid0(VALU_DEP_4) | instskip(NEXT) | instid1(VALU_DEP_3)
	v_pk_add_f32 v[12:13], v[10:11], v[8:9]
	v_dual_fmaak_f32 v23, v14, v23, 0xbf000004 :: v_dual_sub_f32 v24, v24, v8
	s_delay_alu instid0(VALU_DEP_3) | instskip(NEXT) | instid1(VALU_DEP_2)
	v_dual_mul_f32 v22, v14, v22 :: v_dual_mul_f32 v15, v16, v15
	v_dual_sub_f32 v10, v12, v10 :: v_dual_add_f32 v11, v11, v24
	s_delay_alu instid0(VALU_DEP_2) | instskip(NEXT) | instid1(VALU_DEP_2)
	v_dual_fmac_f32 v5, v5, v22 :: v_dual_fmac_f32 v7, v7, v15
	v_sub_f32_e32 v8, v8, v10
	v_fma_f32 v10, v14, v23, 1.0
	s_delay_alu instid0(VALU_DEP_4) | instskip(SKIP_1) | instid1(VALU_DEP_3)
	v_sub_f32_e32 v9, v11, v9
	v_fma_f32 v11, v16, v20, 1.0
	v_dual_add_f32 v8, v13, v8 :: v_dual_cndmask_b32 v5, v10, v5
	s_delay_alu instid0(VALU_DEP_3) | instskip(SKIP_1) | instid1(VALU_DEP_3)
	v_add_f32_e32 v6, v21, v9
	v_cmp_eq_u32_e32 vcc_lo, 0, v17
	v_add_f32_e32 v8, v12, v8
	s_delay_alu instid0(VALU_DEP_4) | instskip(NEXT) | instid1(VALU_DEP_4)
	v_xor3_b32 v5, v4, v19, v5
	v_cndmask_b32_e64 v6, v6, 0x7f800000, s0
	v_cndmask_b32_e64 v7, -v7, v11, vcc_lo
	v_cmp_class_f32_e64 vcc_lo, v2, 0x1f8
	v_cndmask_b32_e64 v4, v8, 0x7f800000, s0
	v_cmp_gt_f32_e64 s0, 0x39800000, |v3|
	v_xor_b32_e32 v5, v5, v2
	v_xor_b32_e32 v7, v18, v7
	s_delay_alu instid0(VALU_DEP_3) | instskip(NEXT) | instid1(VALU_DEP_3)
	v_cndmask_b32_e64 v8, v6, |v3|, s0
	v_cndmask_b32_e32 v6, 0x7fc00000, v5, vcc_lo
	s_delay_alu instid0(VALU_DEP_3) | instskip(NEXT) | instid1(VALU_DEP_3)
	v_cndmask_b32_e32 v7, 0x7fc00000, v7, vcc_lo
	v_bfi_b32 v5, 0x7fffffff, v8, v3
	s_delay_alu instid0(VALU_DEP_1)
	v_pk_mul_f32 v[4:5], v[4:5], v[6:7]
.LBB0_27:
	s_cbranch_execnz .LBB0_8
.LBB0_28:
	s_cmp_gt_i32 s10, 4
	s_cbranch_scc0 .LBB0_30
; %bb.29:
	s_wait_loadcnt 0x0
	v_max_num_f32_e64 v4, |v3|, |v3|
	v_max_num_f32_e64 v5, |v2|, |v2|
	s_mov_b32 s0, 0x3b2d2a58
	v_cmp_gt_f32_e64 vcc_lo, |v3|, |v2|
	v_cmp_class_f32_e64 s1, v2, 0x204
	v_cmp_class_f32_e64 s2, v3, 0x204
	v_dual_max_num_f32 v6, v5, v4 :: v_dual_min_num_f32 v4, v5, v4
	s_delay_alu instid0(VALU_DEP_1) | instskip(SKIP_1) | instid1(VALU_DEP_2)
	v_frexp_mant_f32_e32 v7, v6
	v_frexp_exp_i32_f32_e32 v5, v6
	v_rcp_f32_e32 v6, v7
	v_nop
	v_frexp_exp_i32_f32_e32 v7, v4
	v_frexp_mant_f32_e32 v4, v4
	s_delay_alu instid0(TRANS32_DEP_1) | instid1(VALU_DEP_1)
	v_dual_mul_f32 v4, v4, v6 :: v_dual_sub_nc_u32 v5, v7, v5
	s_delay_alu instid0(VALU_DEP_1) | instskip(NEXT) | instid1(VALU_DEP_1)
	v_ldexp_f32 v4, v4, v5
	v_mul_f32_e32 v5, v4, v4
	s_delay_alu instid0(VALU_DEP_1) | instskip(SKIP_1) | instid1(VALU_DEP_2)
	v_fmaak_f32 v6, s0, v5, 0xbc7a590c
	v_cmp_eq_f32_e64 s0, 0, v3
	v_fmaak_f32 v6, v5, v6, 0x3d29fb3f
	s_delay_alu instid0(VALU_DEP_1) | instskip(NEXT) | instid1(VALU_DEP_1)
	v_fmaak_f32 v6, v5, v6, 0xbd97d4d7
	v_fmaak_f32 v6, v5, v6, 0x3dd931b2
	s_delay_alu instid0(VALU_DEP_1) | instskip(NEXT) | instid1(VALU_DEP_1)
	v_fmaak_f32 v6, v5, v6, 0xbe1160e6
	;; [unrolled: 3-line block ×3, first 2 shown]
	v_mul_f32_e32 v5, v5, v6
	s_delay_alu instid0(VALU_DEP_1) | instskip(NEXT) | instid1(VALU_DEP_1)
	v_fmac_f32_e32 v4, v4, v5
	v_sub_f32_e32 v5, 0x3fc90fdb, v4
	s_delay_alu instid0(VALU_DEP_1) | instskip(SKIP_1) | instid1(VALU_DEP_2)
	v_cndmask_b32_e32 v4, v4, v5, vcc_lo
	v_cmp_gt_i32_e32 vcc_lo, 0, v2
	v_sub_f32_e32 v5, 0x40490fdb, v4
	v_cndmask_b32_e64 v6, 0, 0x40490fdb, vcc_lo
	v_cmp_gt_f32_e32 vcc_lo, 0, v2
	s_delay_alu instid0(VALU_DEP_3) | instskip(NEXT) | instid1(VALU_DEP_1)
	v_dual_cndmask_b32 v4, v4, v5 :: v_dual_mov_b32 v5, 0x4016cbe4
	v_cndmask_b32_e64 v4, v4, v6, s0
	s_delay_alu instid0(VALU_DEP_2) | instskip(SKIP_1) | instid1(VALU_DEP_1)
	v_cndmask_b32_e32 v5, 0x3f490fdb, v5, vcc_lo
	s_and_b32 vcc_lo, s1, s2
	v_cndmask_b32_e32 v4, v4, v5, vcc_lo
	v_cmp_o_f32_e32 vcc_lo, v3, v2
	s_delay_alu instid0(VALU_DEP_2) | instskip(NEXT) | instid1(VALU_DEP_1)
	v_cndmask_b32_e32 v4, 0x7fc00000, v4, vcc_lo
	v_bfi_b32 v4, 0x7fffffff, v4, v3
	s_cbranch_execz .LBB0_31
	s_branch .LBB0_34
.LBB0_30:
                                        ; implicit-def: $vgpr4
.LBB0_31:
	s_wait_loadcnt 0x0
	v_cmp_lt_f32_e64 s0, |v2|, |v3|
	s_mov_b32 s1, exec_lo
	v_cndmask_b32_e64 v4, |v2|, |v3|, s0
	s_delay_alu instid0(VALU_DEP_1)
	v_cmpx_neq_f32_e32 0, v4
	s_cbranch_execz .LBB0_33
; %bb.32:
	v_div_scale_f32 v5, null, v4, v4, v3
	v_div_scale_f32 v6, null, v4, v4, v2
	v_div_scale_f32 v11, vcc_lo, v3, v4, v3
	s_delay_alu instid0(VALU_DEP_3) | instskip(NEXT) | instid1(VALU_DEP_2)
	v_rcp_f32_e32 v7, v5
	v_rcp_f32_e32 v8, v6
	s_delay_alu instid0(TRANS32_DEP_2) | instskip(NEXT) | instid1(TRANS32_DEP_1)
	v_fma_f32 v9, -v5, v7, 1.0
	v_fma_f32 v10, -v6, v8, 1.0
	s_delay_alu instid0(VALU_DEP_1) | instskip(SKIP_1) | instid1(VALU_DEP_1)
	v_dual_fmac_f32 v7, v9, v7 :: v_dual_fmac_f32 v8, v10, v8
	v_div_scale_f32 v9, s0, v2, v4, v2
	v_dual_mul_f32 v10, v11, v7 :: v_dual_mul_f32 v12, v9, v8
	s_delay_alu instid0(VALU_DEP_1) | instskip(NEXT) | instid1(VALU_DEP_1)
	v_dual_fma_f32 v13, -v5, v10, v11 :: v_dual_fma_f32 v14, -v6, v12, v9
	v_dual_fmac_f32 v10, v13, v7 :: v_dual_fmac_f32 v12, v14, v8
	s_delay_alu instid0(VALU_DEP_1) | instskip(NEXT) | instid1(VALU_DEP_1)
	v_dual_fma_f32 v5, -v5, v10, v11 :: v_dual_fma_f32 v6, -v6, v12, v9
	v_div_fmas_f32 v5, v5, v7, v10
	s_mov_b32 vcc_lo, s0
	s_delay_alu instid0(VALU_DEP_2) | instskip(NEXT) | instid1(VALU_DEP_2)
	v_div_fmas_f32 v6, v6, v8, v12
	v_div_fixup_f32 v7, v5, v4, v3
	s_delay_alu instid0(VALU_DEP_2) | instskip(NEXT) | instid1(VALU_DEP_1)
	v_div_fixup_f32 v6, v6, v4, v2
	v_pk_mul_f32 v[6:7], v[6:7], v[6:7]
	s_delay_alu instid0(VALU_DEP_1) | instskip(NEXT) | instid1(VALU_DEP_1)
	v_add_f32_e32 v5, v6, v7
	v_mul_f32_e32 v6, 0x4f800000, v5
	v_cmp_gt_f32_e32 vcc_lo, 0xf800000, v5
	s_delay_alu instid0(VALU_DEP_2) | instskip(NEXT) | instid1(VALU_DEP_1)
	v_cndmask_b32_e32 v5, v5, v6, vcc_lo
	v_sqrt_f32_e32 v6, v5
	v_nop
	s_delay_alu instid0(TRANS32_DEP_1) | instskip(NEXT) | instid1(VALU_DEP_1)
	v_dual_add_nc_u32 v7, -1, v6 :: v_dual_add_nc_u32 v8, 1, v6
	v_dual_fma_f32 v9, -v7, v6, v5 :: v_dual_fma_f32 v10, -v8, v6, v5
	s_delay_alu instid0(VALU_DEP_1) | instskip(NEXT) | instid1(VALU_DEP_1)
	v_cmp_ge_f32_e64 s0, 0, v9
	v_cndmask_b32_e64 v6, v6, v7, s0
	s_delay_alu instid0(VALU_DEP_3) | instskip(NEXT) | instid1(VALU_DEP_1)
	v_cmp_lt_f32_e64 s0, 0, v10
	v_cndmask_b32_e64 v6, v6, v8, s0
	s_delay_alu instid0(VALU_DEP_1) | instskip(NEXT) | instid1(VALU_DEP_1)
	v_mul_f32_e32 v7, 0x37800000, v6
	v_cndmask_b32_e32 v6, v6, v7, vcc_lo
	v_cmp_class_f32_e64 vcc_lo, v5, 0x260
	s_delay_alu instid0(VALU_DEP_2) | instskip(NEXT) | instid1(VALU_DEP_1)
	v_cndmask_b32_e32 v5, v6, v5, vcc_lo
	v_mul_f32_e32 v4, v4, v5
.LBB0_33:
	s_or_b32 exec_lo, exec_lo, s1
.LBB0_34:
	v_mov_b32_e32 v5, 0
	s_cbranch_execnz .LBB0_59
.LBB0_35:
	v_lshl_add_u64 v[4:5], v[0:1], 3, s[6:7]
	s_cmp_lt_i32 s10, 2
	global_load_b64 v[6:7], v[4:5], off
	s_cbranch_scc1 .LBB0_53
; %bb.36:
	s_cmp_gt_i32 s10, 2
	s_cbranch_scc0 .LBB0_54
; %bb.37:
	s_wait_loadcnt 0x0
	v_max_num_f32_e64 v4, |v7|, |v7|
	v_max_num_f32_e64 v5, |v6|, |v6|
	v_dual_mov_b32 v11, v3 :: v_dual_mov_b32 v14, v2
	s_delay_alu instid0(VALU_DEP_2) | instskip(NEXT) | instid1(VALU_DEP_1)
	v_max_num_f32_e32 v8, v5, v4
	v_cvt_f64_f32_e32 v[4:5], v8
	s_delay_alu instid0(VALU_DEP_1) | instskip(NEXT) | instid1(VALU_DEP_1)
	v_frexp_exp_i32_f64_e32 v4, v[4:5]
	v_add_nc_u32_e32 v4, -1, v4
	v_cmp_lg_f32_e32 vcc_lo, 0x7f800000, v8
	s_delay_alu instid0(VALU_DEP_2) | instskip(NEXT) | instid1(VALU_DEP_1)
	v_cvt_f32_i32_e32 v4, v4
	v_cndmask_b32_e32 v4, v8, v4, vcc_lo
	v_cmp_neq_f32_e32 vcc_lo, 0, v8
	s_delay_alu instid0(VALU_DEP_2) | instskip(NEXT) | instid1(VALU_DEP_1)
	v_cndmask_b32_e32 v12, 0xff800000, v4, vcc_lo
	v_cvt_i32_f32_e32 v13, v12
	v_cmp_class_f32_e64 vcc_lo, v12, 0x1f8
	s_delay_alu instid0(VALU_DEP_2) | instskip(NEXT) | instid1(VALU_DEP_1)
	v_dual_cndmask_b32 v13, 0, v13 :: v_dual_sub_nc_u32 v4, 0, v13
	v_ldexp_f32 v5, v6, v4
	v_ldexp_f32 v4, v7, v4
	s_delay_alu instid0(VALU_DEP_3) | instskip(NEXT) | instid1(VALU_DEP_2)
	v_sub_nc_u32_e32 v13, 0, v13
	v_dual_cndmask_b32 v9, v6, v5 :: v_dual_cndmask_b32 v8, v7, v4
	v_dual_mov_b32 v4, v3 :: v_dual_mov_b32 v5, v2
	s_delay_alu instid0(VALU_DEP_2) | instskip(NEXT) | instid1(VALU_DEP_2)
	v_mov_b32_e32 v10, v8
	v_pk_mul_f32 v[4:5], v[8:9], v[4:5]
	s_delay_alu instid0(VALU_DEP_2) | instskip(SKIP_1) | instid1(VALU_DEP_1)
	v_pk_mul_f32 v[10:11], v[10:11], v[8:9]
	v_mov_b32_e32 v15, v9
	v_pk_mul_f32 v[14:15], v[8:9], v[14:15]
	s_delay_alu instid0(VALU_DEP_1) | instskip(NEXT) | instid1(VALU_DEP_2)
	v_dual_add_f32 v4, v5, v4 :: v_dual_add_f32 v10, v10, v15
	v_sub_f32_e32 v5, v11, v14
	s_delay_alu instid0(VALU_DEP_2) | instskip(NEXT) | instid1(VALU_DEP_2)
	v_div_scale_f32 v11, null, v10, v10, v4
	v_div_scale_f32 v14, null, v10, v10, v5
	v_div_scale_f32 v19, s0, v4, v10, v4
	s_delay_alu instid0(VALU_DEP_3) | instskip(NEXT) | instid1(VALU_DEP_2)
	v_rcp_f32_e32 v15, v11
	v_rcp_f32_e32 v16, v14
	s_mov_b32 vcc_lo, s0
	s_delay_alu instid0(TRANS32_DEP_2) | instskip(NEXT) | instid1(TRANS32_DEP_1)
	v_fma_f32 v17, -v11, v15, 1.0
	v_fma_f32 v18, -v14, v16, 1.0
	s_delay_alu instid0(VALU_DEP_1) | instskip(SKIP_1) | instid1(VALU_DEP_1)
	v_dual_fmac_f32 v15, v17, v15 :: v_dual_fmac_f32 v16, v18, v16
	v_div_scale_f32 v17, s1, v5, v10, v5
	v_dual_mul_f32 v18, v19, v15 :: v_dual_mul_f32 v20, v17, v16
	s_delay_alu instid0(VALU_DEP_1) | instskip(NEXT) | instid1(VALU_DEP_1)
	v_dual_fma_f32 v21, -v11, v18, v19 :: v_dual_fma_f32 v22, -v14, v20, v17
	v_dual_fmac_f32 v18, v21, v15 :: v_dual_fmac_f32 v20, v22, v16
	s_delay_alu instid0(VALU_DEP_1) | instskip(NEXT) | instid1(VALU_DEP_1)
	v_dual_fma_f32 v11, -v11, v18, v19 :: v_dual_fma_f32 v14, -v14, v20, v17
	v_div_fmas_f32 v11, v11, v15, v18
	s_mov_b32 vcc_lo, s1
	s_mov_b32 s1, 0
	s_delay_alu instid0(VALU_DEP_2) | instskip(NEXT) | instid1(VALU_DEP_2)
	v_div_fmas_f32 v14, v14, v16, v20
	v_div_fixup_f32 v4, v11, v10, v4
	s_delay_alu instid0(VALU_DEP_2) | instskip(NEXT) | instid1(VALU_DEP_2)
	v_div_fixup_f32 v5, v14, v10, v5
	v_ldexp_f32 v4, v4, v13
	s_delay_alu instid0(VALU_DEP_2) | instskip(NEXT) | instid1(VALU_DEP_2)
	v_ldexp_f32 v5, v5, v13
	v_cmp_u_f32_e32 vcc_lo, v4, v4
	s_delay_alu instid0(VALU_DEP_2) | instskip(SKIP_1) | instid1(SALU_CYCLE_1)
	v_cmp_u_f32_e64 s0, v5, v5
	s_and_b32 s0, vcc_lo, s0
	s_and_saveexec_b32 s2, s0
	s_cbranch_execz .LBB0_51
; %bb.38:
	v_cmp_neq_f32_e64 s3, 0, v10
	v_cmp_eq_f32_e32 vcc_lo, 0, v10
                                        ; implicit-def: $vgpr11
	s_and_saveexec_b32 s4, vcc_lo
	s_cbranch_execz .LBB0_42
; %bb.39:
	v_cmp_o_f32_e32 vcc_lo, v2, v2
	v_cmp_o_f32_e64 s0, v3, v3
                                        ; implicit-def: $vgpr11
	s_or_b32 s6, vcc_lo, s0
	s_mov_b32 s0, -1
	s_and_saveexec_b32 s5, s6
; %bb.40:
	s_mov_b32 s0, 0x7f800000
	s_delay_alu instid0(SALU_CYCLE_1) | instskip(SKIP_1) | instid1(VALU_DEP_1)
	v_bfi_b32 v10, 0x7fffffff, s0, v9
	s_xor_b32 s0, exec_lo, -1
	v_pk_mul_f32 v[10:11], v[10:11], v[2:3] op_sel_hi:[0,1]
; %bb.41:
	s_or_b32 exec_lo, exec_lo, s5
	s_delay_alu instid0(SALU_CYCLE_1) | instskip(SKIP_1) | instid1(SALU_CYCLE_1)
	s_and_not1_b32 s3, s3, exec_lo
	s_and_b32 s0, s0, exec_lo
	s_or_b32 s3, s3, s0
.LBB0_42:
	s_or_b32 exec_lo, exec_lo, s4
	s_and_saveexec_b32 s0, s3
	s_cbranch_execz .LBB0_50
; %bb.43:
	v_cmp_class_f32_e64 s3, v2, 0x204
	v_cmp_class_f32_e64 s4, v3, 0x204
	v_cmp_nlg_f32_e64 s5, 0x7f800000, |v9|
	v_cmp_nlg_f32_e64 s6, 0x7f800000, |v8|
	s_nor_b32 s7, s3, s4
	s_delay_alu instid0(SALU_CYCLE_1) | instskip(NEXT) | instid1(SALU_CYCLE_1)
	s_or_b32 s5, s7, s5
	s_or_b32 s5, s5, s6
	s_delay_alu instid0(SALU_CYCLE_1) | instskip(NEXT) | instid1(SALU_CYCLE_1)
	s_and_saveexec_b32 s6, s5
	s_xor_b32 s5, exec_lo, s6
	s_cbranch_execz .LBB0_47
; %bb.44:
	v_cmp_class_f32_e64 s6, v2, 0x1f8
	v_cmp_class_f32_e64 s7, v3, 0x1f8
	v_cmp_eq_f32_e32 vcc_lo, 0x7f800000, v12
	s_and_b32 s6, s6, s7
	s_delay_alu instid0(SALU_CYCLE_1) | instskip(NEXT) | instid1(SALU_CYCLE_1)
	s_and_b32 s7, s6, vcc_lo
	s_and_saveexec_b32 s6, s7
	s_cbranch_execz .LBB0_46
; %bb.45:
	v_cmp_class_f32_e64 s7, v9, 0x204
	s_delay_alu instid0(VALU_DEP_1) | instskip(SKIP_1) | instid1(VALU_DEP_2)
	v_cndmask_b32_e64 v4, 0, 1, s7
	v_cmp_class_f32_e64 s7, v8, 0x204
	v_cvt_f64_u32_e32 v[4:5], v4
	s_delay_alu instid0(VALU_DEP_2) | instskip(NEXT) | instid1(VALU_DEP_1)
	v_cndmask_b32_e64 v10, 0, 1, s7
	v_cvt_f64_u32_e32 v[10:11], v10
	s_delay_alu instid0(VALU_DEP_3) | instskip(NEXT) | instid1(VALU_DEP_1)
	v_bfi_b32 v5, 0x7fffffff, v5, v9
	v_cvt_f32_f64_e32 v5, v[4:5]
	s_delay_alu instid0(VALU_DEP_3) | instskip(NEXT) | instid1(VALU_DEP_1)
	v_bfi_b32 v11, 0x7fffffff, v11, v8
	v_cvt_f32_f64_e32 v4, v[10:11]
	s_delay_alu instid0(VALU_DEP_1) | instskip(NEXT) | instid1(VALU_DEP_1)
	v_dual_mov_b32 v8, v5 :: v_dual_mov_b32 v9, v4
	v_pk_mul_f32 v[8:9], v[2:3], v[8:9] op_sel_hi:[0,1]
	s_delay_alu instid0(VALU_DEP_1) | instskip(SKIP_1) | instid1(VALU_DEP_2)
	v_pk_fma_f32 v[10:11], v[2:3], v[4:5], v[8:9] op_sel:[1,0,0] neg_lo:[0,0,1] neg_hi:[0,0,1]
	v_pk_fma_f32 v[4:5], v[2:3], v[4:5], v[8:9] op_sel:[1,0,0]
	v_mov_b32_e32 v5, v11
	s_delay_alu instid0(VALU_DEP_1)
	v_pk_mul_f32 v[4:5], v[4:5], 0 op_sel_hi:[1,0]
.LBB0_46:
	s_or_b32 exec_lo, exec_lo, s6
                                        ; implicit-def: $vgpr8_vgpr9
.LBB0_47:
	s_and_not1_saveexec_b32 s5, s5
	s_cbranch_execz .LBB0_49
; %bb.48:
	v_cndmask_b32_e64 v4, 0, 1, s4
	v_cndmask_b32_e64 v10, 0, 1, s3
	s_mov_b32 s4, 0x7f800000
	s_delay_alu instid0(VALU_DEP_2) | instskip(NEXT) | instid1(VALU_DEP_2)
	v_cvt_f64_u32_e32 v[4:5], v4
	v_cvt_f64_u32_e32 v[10:11], v10
	s_delay_alu instid0(VALU_DEP_2) | instskip(NEXT) | instid1(VALU_DEP_2)
	v_bfi_b32 v5, 0x7fffffff, v5, v3
	v_bfi_b32 v11, 0x7fffffff, v11, v2
	s_delay_alu instid0(VALU_DEP_2) | instskip(NEXT) | instid1(VALU_DEP_2)
	v_cvt_f32_f64_e32 v5, v[4:5]
	v_cvt_f32_f64_e32 v4, v[10:11]
	s_delay_alu instid0(VALU_DEP_1) | instskip(NEXT) | instid1(VALU_DEP_1)
	v_dual_mov_b32 v10, v5 :: v_dual_mov_b32 v11, v4
	v_pk_mul_f32 v[10:11], v[8:9], v[10:11] op_sel_hi:[0,1]
	s_delay_alu instid0(VALU_DEP_1) | instskip(SKIP_1) | instid1(VALU_DEP_2)
	v_pk_fma_f32 v[12:13], v[8:9], v[4:5], v[10:11] op_sel:[1,0,0] neg_lo:[0,0,1] neg_hi:[0,0,1]
	v_pk_fma_f32 v[4:5], v[8:9], v[4:5], v[10:11] op_sel:[1,0,0]
	v_mov_b32_e32 v5, v13
	s_delay_alu instid0(VALU_DEP_1)
	v_pk_mul_f32 v[4:5], v[4:5], s[4:5] op_sel_hi:[1,0]
.LBB0_49:
	s_or_b32 exec_lo, exec_lo, s5
	s_delay_alu instid0(VALU_DEP_1)
	v_dual_mov_b32 v11, v5 :: v_dual_mov_b32 v10, v4
.LBB0_50:
	s_or_b32 exec_lo, exec_lo, s0
	s_delay_alu instid0(VALU_DEP_1)
	v_dual_mov_b32 v5, v11 :: v_dual_mov_b32 v4, v10
.LBB0_51:
	s_or_b32 exec_lo, exec_lo, s2
	s_delay_alu instid0(SALU_CYCLE_1)
	s_and_not1_b32 vcc_lo, exec_lo, s1
	s_cbranch_vccz .LBB0_55
; %bb.52:
	s_cbranch_execnz .LBB0_59
	s_branch .LBB0_57
.LBB0_53:
                                        ; implicit-def: $vgpr5
	s_branch .LBB0_57
.LBB0_54:
                                        ; implicit-def: $vgpr5
.LBB0_55:
	s_wait_loadcnt 0x0
	v_pk_mul_f32 v[14:15], v[2:3], v[6:7] op_sel:[1,1] op_sel_hi:[1,0]
	v_pk_mul_f32 v[16:17], v[2:3], v[6:7] op_sel_hi:[0,1]
	s_mov_b32 s1, exec_lo
	s_delay_alu instid0(VALU_DEP_2) | instskip(NEXT) | instid1(VALU_DEP_2)
	v_pk_fma_f32 v[4:5], v[2:3], v[6:7], v[14:15] op_sel_hi:[0,1,1]
	v_sub_f32_e32 v4, v16, v14
	s_delay_alu instid0(VALU_DEP_1)
	v_cmpx_u_f32_e32 v4, v4
	s_cbranch_execnz .LBB0_64
.LBB0_56:
	s_or_b32 exec_lo, exec_lo, s1
	s_cbranch_execnz .LBB0_59
.LBB0_57:
	s_cmp_gt_i32 s10, 0
	s_mov_b32 s0, 0
	s_cbranch_scc0 .LBB0_60
; %bb.58:
	s_wait_loadcnt 0x0
	v_pk_add_f32 v[4:5], v[2:3], v[6:7] neg_lo:[0,1] neg_hi:[0,1]
	s_and_not1_b32 vcc_lo, exec_lo, s0
	s_cbranch_vccz .LBB0_61
.LBB0_59:
	s_wait_xcnt 0x0
	v_lshl_add_u64 v[0:1], v[0:1], 3, s[8:9]
	global_store_b64 v[0:1], v[4:5], off
	s_endpgm
.LBB0_60:
                                        ; implicit-def: $vgpr5
.LBB0_61:
	s_cmp_lg_u32 s10, 0
	s_cbranch_scc1 .LBB0_63
; %bb.62:
	s_wait_loadcnt 0x0
	v_pk_add_f32 v[2:3], v[2:3], v[6:7]
.LBB0_63:
	s_wait_loadcnt 0x1
	s_wait_xcnt 0x0
	s_delay_alu instid0(VALU_DEP_1)
	v_dual_mov_b32 v5, v3 :: v_dual_mov_b32 v4, v2
	v_lshl_add_u64 v[0:1], v[0:1], 3, s[8:9]
	global_store_b64 v[0:1], v[4:5], off
	s_endpgm
.LBB0_64:
	s_mov_b32 s2, exec_lo
	v_cmpx_u_f32_e32 v5, v5
	s_cbranch_execnz .LBB0_66
.LBB0_65:
	s_or_b32 exec_lo, exec_lo, s2
	s_branch .LBB0_56
.LBB0_66:
	v_cmp_class_f32_e64 s4, v2, 0x204
	v_cmp_class_f32_e64 s0, v3, 0x204
	v_mov_b64_e32 v[8:9], v[2:3]
	v_dual_mov_b32 v11, 0 :: v_dual_mov_b32 v10, v7
	v_mov_b32_e32 v12, v6
	s_or_b32 s5, s4, s0
	s_delay_alu instid0(SALU_CYCLE_1)
	s_and_saveexec_b32 s3, s5
	s_cbranch_execz .LBB0_70
; %bb.67:
	v_cndmask_b32_e64 v8, 0, 1, s4
	v_cndmask_b32_e64 v10, 0, 1, s0
	s_mov_b32 s4, exec_lo
	v_cmp_u_f32_e32 vcc_lo, v6, v6
	s_delay_alu instid0(VALU_DEP_3) | instskip(NEXT) | instid1(VALU_DEP_3)
	v_cvt_f64_u32_e32 v[8:9], v8
	v_cvt_f64_u32_e32 v[10:11], v10
	s_delay_alu instid0(VALU_DEP_2) | instskip(NEXT) | instid1(VALU_DEP_2)
	v_bfi_b32 v9, 0x7fffffff, v9, v2
	v_bfi_b32 v11, 0x7fffffff, v11, v3
	s_delay_alu instid0(VALU_DEP_2) | instskip(NEXT) | instid1(VALU_DEP_2)
	v_cvt_f32_f64_e32 v8, v[8:9]
	v_cvt_f32_f64_e32 v9, v[10:11]
	v_bfi_b32 v11, 0x7fffffff, 0, v6
	v_mov_b32_e32 v10, v7
	v_cmpx_u_f32_e32 v7, v7
; %bb.68:
	v_bfi_b32 v10, 0x7fffffff, 0, v7
; %bb.69:
	s_or_b32 exec_lo, exec_lo, s4
	v_dual_cndmask_b32 v12, v6, v11 :: v_dual_mov_b32 v11, 1
.LBB0_70:
	s_or_b32 exec_lo, exec_lo, s3
	s_delay_alu instid0(VALU_DEP_1) | instskip(SKIP_2) | instid1(SALU_CYCLE_1)
	v_cmp_class_f32_e64 s4, v12, 0x204
	v_cmp_class_f32_e64 s3, v10, 0x204
	s_or_b32 s5, s3, s4
	s_and_saveexec_b32 s0, s5
	s_cbranch_execz .LBB0_74
; %bb.71:
	v_cndmask_b32_e64 v11, 0, 1, s4
	v_cndmask_b32_e64 v13, 0, 1, s3
	v_cmp_u_f32_e32 vcc_lo, v8, v8
	s_mov_b32 s3, exec_lo
	s_delay_alu instid0(VALU_DEP_3) | instskip(NEXT) | instid1(VALU_DEP_3)
	v_cvt_f64_u32_e32 v[18:19], v11
	v_cvt_f64_u32_e32 v[20:21], v13
	s_delay_alu instid0(VALU_DEP_2) | instskip(NEXT) | instid1(VALU_DEP_2)
	v_cvt_f32_f64_e32 v11, v[18:19]
	v_cvt_f32_f64_e32 v13, v[20:21]
	v_bfi_b32 v18, 0x7fffffff, 0, v8
	s_delay_alu instid0(VALU_DEP_1)
	v_cndmask_b32_e32 v8, v8, v18, vcc_lo
	v_cmpx_u_f32_e32 v9, v9
; %bb.72:
	v_bfi_b32 v9, 0x7fffffff, 0, v9
; %bb.73:
	s_or_b32 exec_lo, exec_lo, s3
	v_bfi_b32 v12, 0x7fffffff, v11, v12
	v_bfi_b32 v10, 0x7fffffff, v13, v10
	v_mov_b32_e32 v11, 1
.LBB0_74:
	s_or_b32 exec_lo, exec_lo, s0
	s_mov_b32 s0, 0
	s_mov_b32 s4, -1
	s_mov_b32 s3, exec_lo
	v_cmpx_eq_u32_e32 0, v11
	s_cbranch_execz .LBB0_80
; %bb.75:
	v_cmp_class_f32_e64 s4, v16, 0x204
	v_cmp_class_f32_e64 s5, v14, 0x204
	;; [unrolled: 1-line block ×4, first 2 shown]
	s_or_b32 s4, s4, s5
	s_delay_alu instid0(SALU_CYCLE_1) | instskip(NEXT) | instid1(SALU_CYCLE_1)
	s_or_b32 s4, s6, s4
	s_or_b32 s5, s7, s4
	s_delay_alu instid0(SALU_CYCLE_1)
	s_and_saveexec_b32 s4, s5
	s_cbranch_execz .LBB0_79
; %bb.76:
	v_bfi_b32 v15, 0x7fffffff, 0, v9
	v_cmp_u_f32_e64 s0, v9, v9
	v_mov_b32_e32 v14, 0
	v_bfi_b32 v17, 0x7fffffff, 0, v8
	v_bfi_b32 v11, 0x7fffffff, 0, v12
	s_mov_b32 s5, exec_lo
	v_cmp_u_f32_e32 vcc_lo, v12, v12
	v_cvt_f32_f64_e32 v13, v[14:15]
	s_delay_alu instid0(VALU_DEP_1) | instskip(SKIP_2) | instid1(VALU_DEP_1)
	v_cndmask_b32_e64 v9, v9, v13, s0
	v_cmp_u_f32_e64 s0, v8, v8
	v_mov_b32_e32 v16, v14
	v_cvt_f32_f64_e32 v14, v[16:17]
	s_delay_alu instid0(VALU_DEP_1)
	v_cndmask_b32_e64 v8, v8, v14, s0
	v_cmpx_u_f32_e32 v10, v10
; %bb.77:
	v_bfi_b32 v10, 0x7fffffff, 0, v10
; %bb.78:
	s_or_b32 exec_lo, exec_lo, s5
	v_cndmask_b32_e32 v12, v12, v11, vcc_lo
	s_mov_b32 s0, exec_lo
.LBB0_79:
	s_or_b32 exec_lo, exec_lo, s4
	s_delay_alu instid0(SALU_CYCLE_1)
	s_or_not1_b32 s4, s0, exec_lo
.LBB0_80:
	s_or_b32 exec_lo, exec_lo, s3
	s_and_saveexec_b32 s0, s4
; %bb.81:
	v_pk_mul_f32 v[4:5], v[10:11], v[8:9] op_sel:[0,1] op_sel_hi:[0,0]
	s_mov_b32 s4, 0x7f800000
	s_delay_alu instid0(VALU_DEP_1) | instskip(SKIP_1) | instid1(VALU_DEP_2)
	v_pk_fma_f32 v[10:11], v[12:13], v[8:9], v[4:5] op_sel_hi:[0,1,1]
	v_pk_fma_f32 v[4:5], v[12:13], v[8:9], v[4:5] neg_lo:[0,0,1] neg_hi:[0,0,1]
	v_mov_b32_e32 v5, v11
	s_delay_alu instid0(VALU_DEP_1)
	v_pk_mul_f32 v[4:5], v[4:5], s[4:5] op_sel_hi:[1,0]
; %bb.82:
	s_or_b32 exec_lo, exec_lo, s0
	s_branch .LBB0_65
	.section	.rodata,"a",@progbits
	.p2align	6, 0x0
	.amdhsa_kernel _Z6kernelIfEvPSt7complexIT_ES3_S3_8CalcKind
		.amdhsa_group_segment_fixed_size 0
		.amdhsa_private_segment_fixed_size 0
		.amdhsa_kernarg_size 288
		.amdhsa_user_sgpr_count 2
		.amdhsa_user_sgpr_dispatch_ptr 0
		.amdhsa_user_sgpr_queue_ptr 0
		.amdhsa_user_sgpr_kernarg_segment_ptr 1
		.amdhsa_user_sgpr_dispatch_id 0
		.amdhsa_user_sgpr_kernarg_preload_length 0
		.amdhsa_user_sgpr_kernarg_preload_offset 0
		.amdhsa_user_sgpr_private_segment_size 0
		.amdhsa_wavefront_size32 1
		.amdhsa_uses_dynamic_stack 0
		.amdhsa_enable_private_segment 0
		.amdhsa_system_sgpr_workgroup_id_x 1
		.amdhsa_system_sgpr_workgroup_id_y 0
		.amdhsa_system_sgpr_workgroup_id_z 0
		.amdhsa_system_sgpr_workgroup_info 0
		.amdhsa_system_vgpr_workitem_id 0
		.amdhsa_next_free_vgpr 25
		.amdhsa_next_free_sgpr 11
		.amdhsa_named_barrier_count 0
		.amdhsa_reserve_vcc 1
		.amdhsa_float_round_mode_32 0
		.amdhsa_float_round_mode_16_64 0
		.amdhsa_float_denorm_mode_32 3
		.amdhsa_float_denorm_mode_16_64 3
		.amdhsa_fp16_overflow 0
		.amdhsa_memory_ordered 1
		.amdhsa_forward_progress 1
		.amdhsa_inst_pref_size 67
		.amdhsa_round_robin_scheduling 0
		.amdhsa_exception_fp_ieee_invalid_op 0
		.amdhsa_exception_fp_denorm_src 0
		.amdhsa_exception_fp_ieee_div_zero 0
		.amdhsa_exception_fp_ieee_overflow 0
		.amdhsa_exception_fp_ieee_underflow 0
		.amdhsa_exception_fp_ieee_inexact 0
		.amdhsa_exception_int_div_zero 0
	.end_amdhsa_kernel
	.section	.text._Z6kernelIfEvPSt7complexIT_ES3_S3_8CalcKind,"axG",@progbits,_Z6kernelIfEvPSt7complexIT_ES3_S3_8CalcKind,comdat
.Lfunc_end0:
	.size	_Z6kernelIfEvPSt7complexIT_ES3_S3_8CalcKind, .Lfunc_end0-_Z6kernelIfEvPSt7complexIT_ES3_S3_8CalcKind
                                        ; -- End function
	.set _Z6kernelIfEvPSt7complexIT_ES3_S3_8CalcKind.num_vgpr, 25
	.set _Z6kernelIfEvPSt7complexIT_ES3_S3_8CalcKind.num_agpr, 0
	.set _Z6kernelIfEvPSt7complexIT_ES3_S3_8CalcKind.numbered_sgpr, 11
	.set _Z6kernelIfEvPSt7complexIT_ES3_S3_8CalcKind.num_named_barrier, 0
	.set _Z6kernelIfEvPSt7complexIT_ES3_S3_8CalcKind.private_seg_size, 0
	.set _Z6kernelIfEvPSt7complexIT_ES3_S3_8CalcKind.uses_vcc, 1
	.set _Z6kernelIfEvPSt7complexIT_ES3_S3_8CalcKind.uses_flat_scratch, 0
	.set _Z6kernelIfEvPSt7complexIT_ES3_S3_8CalcKind.has_dyn_sized_stack, 0
	.set _Z6kernelIfEvPSt7complexIT_ES3_S3_8CalcKind.has_recursion, 0
	.set _Z6kernelIfEvPSt7complexIT_ES3_S3_8CalcKind.has_indirect_call, 0
	.section	.AMDGPU.csdata,"",@progbits
; Kernel info:
; codeLenInByte = 8524
; TotalNumSgprs: 13
; NumVgprs: 25
; ScratchSize: 0
; MemoryBound: 0
; FloatMode: 240
; IeeeMode: 1
; LDSByteSize: 0 bytes/workgroup (compile time only)
; SGPRBlocks: 0
; VGPRBlocks: 1
; NumSGPRsForWavesPerEU: 13
; NumVGPRsForWavesPerEU: 25
; NamedBarCnt: 0
; Occupancy: 16
; WaveLimiterHint : 0
; COMPUTE_PGM_RSRC2:SCRATCH_EN: 0
; COMPUTE_PGM_RSRC2:USER_SGPR: 2
; COMPUTE_PGM_RSRC2:TRAP_HANDLER: 0
; COMPUTE_PGM_RSRC2:TGID_X_EN: 1
; COMPUTE_PGM_RSRC2:TGID_Y_EN: 0
; COMPUTE_PGM_RSRC2:TGID_Z_EN: 0
; COMPUTE_PGM_RSRC2:TIDIG_COMP_CNT: 0
	.section	.text._Z6kernelIdEvPSt7complexIT_ES3_S3_8CalcKind,"axG",@progbits,_Z6kernelIdEvPSt7complexIT_ES3_S3_8CalcKind,comdat
	.protected	_Z6kernelIdEvPSt7complexIT_ES3_S3_8CalcKind ; -- Begin function _Z6kernelIdEvPSt7complexIT_ES3_S3_8CalcKind
	.globl	_Z6kernelIdEvPSt7complexIT_ES3_S3_8CalcKind
	.p2align	8
	.type	_Z6kernelIdEvPSt7complexIT_ES3_S3_8CalcKind,@function
_Z6kernelIdEvPSt7complexIT_ES3_S3_8CalcKind: ; @_Z6kernelIdEvPSt7complexIT_ES3_S3_8CalcKind
; %bb.0:
	s_clause 0x1
	s_load_b32 s2, s[0:1], 0x2c
	s_load_b128 s[4:7], s[0:1], 0x0
	s_bfe_u32 s3, ttmp6, 0x4000c
	s_and_b32 s8, ttmp6, 15
	s_add_co_i32 s3, s3, 1
	s_getreg_b32 s9, hwreg(HW_REG_IB_STS2, 6, 4)
	s_mul_i32 s3, ttmp9, s3
	s_delay_alu instid0(SALU_CYCLE_1)
	s_add_co_i32 s8, s8, s3
	s_wait_kmcnt 0x0
	s_and_b32 s2, s2, 0xffff
	s_cmp_eq_u32 s9, 0
	s_cselect_b32 s3, ttmp9, s8
	s_load_b96 s[8:10], s[0:1], 0x10
	v_mad_u32 v12, s3, s2, v0
	global_load_b128 v[0:3], v12, s[4:5] scale_offset
	v_ashrrev_i32_e32 v13, 31, v12
	s_wait_kmcnt 0x0
	s_cmp_lt_i32 s10, 4
	s_cbranch_scc1 .LBB1_6
; %bb.1:
	s_cmp_lt_i32 s10, 6
	s_cbranch_scc1 .LBB1_7
; %bb.2:
	;; [unrolled: 3-line block ×3, first 2 shown]
	s_wait_loadcnt 0x0
	v_mov_b64_e32 v[6:7], v[2:3]
	v_mov_b64_e32 v[4:5], v[0:1]
	s_cmp_eq_u32 s10, 7
	s_cbranch_scc0 .LBB1_10
; %bb.4:
	v_cmp_ngt_f64_e64 s0, 0x41d00000, |v[0:1]|
                                        ; implicit-def: $vgpr18
                                        ; implicit-def: $vgpr4_vgpr5
                                        ; implicit-def: $vgpr6_vgpr7
	s_and_saveexec_b32 s1, s0
	s_delay_alu instid0(SALU_CYCLE_1)
	s_xor_b32 s1, exec_lo, s1
	s_cbranch_execz .LBB1_11
; %bb.5:
	v_ldexp_f64 v[4:5], |v[0:1]|, 0xffffff80
	v_cmp_le_f64_e64 vcc_lo, 0x7b000000, |v[0:1]|
	v_trig_preop_f64 v[6:7], |v[0:1]|, 0
	v_and_b32_e32 v8, 0x7fffffff, v1
	v_trig_preop_f64 v[20:21], |v[0:1]|, 2
	s_mov_b64 s[2:3], 0x3ff921fb54442d18
	s_delay_alu instid0(VALU_DEP_2) | instskip(SKIP_2) | instid1(VALU_DEP_2)
	v_dual_mov_b32 v28, 0 :: v_dual_cndmask_b32 v5, v8, v5
	v_cndmask_b32_e32 v4, v0, v4, vcc_lo
	v_trig_preop_f64 v[8:9], |v[0:1]|, 1
	v_mul_f64_e32 v[10:11], v[6:7], v[4:5]
	s_delay_alu instid0(VALU_DEP_2) | instskip(NEXT) | instid1(VALU_DEP_2)
	v_mul_f64_e32 v[14:15], v[8:9], v[4:5]
	v_fma_f64 v[6:7], v[6:7], v[4:5], -v[10:11]
	s_delay_alu instid0(VALU_DEP_1) | instskip(NEXT) | instid1(VALU_DEP_1)
	v_add_f64_e32 v[16:17], v[14:15], v[6:7]
	v_add_f64_e64 v[18:19], v[16:17], -v[14:15]
	v_add_f64_e32 v[24:25], v[10:11], v[16:17]
	s_delay_alu instid0(VALU_DEP_2) | instskip(SKIP_2) | instid1(VALU_DEP_4)
	v_add_f64_e64 v[22:23], v[16:17], -v[18:19]
	v_add_f64_e64 v[6:7], v[6:7], -v[18:19]
	v_fma_f64 v[8:9], v[8:9], v[4:5], -v[14:15]
	v_ldexp_f64 v[18:19], v[24:25], -2
	v_mul_f64_e32 v[26:27], v[20:21], v[4:5]
	v_add_f64_e64 v[14:15], v[14:15], -v[22:23]
	s_delay_alu instid0(VALU_DEP_3) | instskip(NEXT) | instid1(VALU_DEP_3)
	v_cmp_neq_f64_e64 vcc_lo, 0x7ff00000, |v[18:19]|
	v_add_f64_e32 v[22:23], v[26:27], v[8:9]
	v_fma_f64 v[4:5], v[20:21], v[4:5], -v[26:27]
	s_delay_alu instid0(VALU_DEP_4) | instskip(SKIP_1) | instid1(VALU_DEP_1)
	v_add_f64_e32 v[6:7], v[6:7], v[14:15]
	v_fract_f64_e32 v[14:15], v[18:19]
	v_ldexp_f64 v[14:15], v[14:15], 2
	s_delay_alu instid0(VALU_DEP_1) | instskip(SKIP_1) | instid1(VALU_DEP_3)
	v_cndmask_b32_e32 v15, 0, v15, vcc_lo
	v_add_f64_e64 v[10:11], v[24:25], -v[10:11]
	v_cndmask_b32_e32 v14, 0, v14, vcc_lo
	s_delay_alu instid0(VALU_DEP_2) | instskip(SKIP_1) | instid1(VALU_DEP_1)
	v_add_f64_e64 v[10:11], v[16:17], -v[10:11]
	v_add_f64_e32 v[16:17], v[22:23], v[6:7]
	v_add_f64_e32 v[18:19], v[10:11], v[16:17]
	v_add_f64_e64 v[30:31], v[16:17], -v[22:23]
	s_delay_alu instid0(VALU_DEP_2) | instskip(NEXT) | instid1(VALU_DEP_2)
	v_add_f64_e32 v[24:25], v[18:19], v[14:15]
	v_add_f64_e64 v[36:37], v[16:17], -v[30:31]
	v_add_f64_e64 v[6:7], v[6:7], -v[30:31]
	;; [unrolled: 1-line block ×3, first 2 shown]
	s_delay_alu instid0(VALU_DEP_4) | instskip(SKIP_1) | instid1(VALU_DEP_3)
	v_cmp_gt_f64_e32 vcc_lo, 0, v[24:25]
	v_add_f64_e64 v[24:25], v[22:23], -v[26:27]
	v_add_f64_e64 v[10:11], v[16:17], -v[10:11]
	v_cndmask_b32_e64 v29, 0, 0x40100000, vcc_lo
	s_delay_alu instid0(VALU_DEP_3) | instskip(SKIP_2) | instid1(VALU_DEP_4)
	v_add_f64_e64 v[34:35], v[22:23], -v[24:25]
	v_add_f64_e64 v[8:9], v[8:9], -v[24:25]
	;; [unrolled: 1-line block ×3, first 2 shown]
	v_add_f64_e32 v[14:15], v[14:15], v[28:29]
	s_delay_alu instid0(VALU_DEP_4) | instskip(NEXT) | instid1(VALU_DEP_3)
	v_add_f64_e64 v[24:25], v[26:27], -v[34:35]
	v_add_f64_e32 v[6:7], v[6:7], v[22:23]
	s_delay_alu instid0(VALU_DEP_3) | instskip(NEXT) | instid1(VALU_DEP_3)
	v_add_f64_e32 v[32:33], v[18:19], v[14:15]
	v_add_f64_e32 v[8:9], v[8:9], v[24:25]
	s_delay_alu instid0(VALU_DEP_2) | instskip(NEXT) | instid1(VALU_DEP_2)
	v_cvt_i32_f64_e32 v29, v[32:33]
	v_add_f64_e32 v[6:7], v[8:9], v[6:7]
	s_delay_alu instid0(VALU_DEP_2) | instskip(NEXT) | instid1(VALU_DEP_2)
	v_cvt_f64_i32_e32 v[30:31], v29
	v_add_f64_e32 v[4:5], v[4:5], v[6:7]
	s_delay_alu instid0(VALU_DEP_2) | instskip(NEXT) | instid1(VALU_DEP_2)
	v_add_f64_e64 v[14:15], v[14:15], -v[30:31]
	v_add_f64_e32 v[4:5], v[10:11], v[4:5]
	s_delay_alu instid0(VALU_DEP_2) | instskip(NEXT) | instid1(VALU_DEP_1)
	v_add_f64_e32 v[8:9], v[18:19], v[14:15]
	v_add_f64_e64 v[6:7], v[8:9], -v[14:15]
	v_cmp_le_f64_e32 vcc_lo, 0.5, v[8:9]
	s_delay_alu instid0(VALU_DEP_2) | instskip(SKIP_2) | instid1(VALU_DEP_3)
	v_add_f64_e64 v[6:7], v[18:19], -v[6:7]
	v_add_co_ci_u32_e64 v18, null, 0, v29, vcc_lo
	v_cndmask_b32_e64 v29, 0, 0x3ff00000, vcc_lo
	v_add_f64_e32 v[4:5], v[4:5], v[6:7]
	s_delay_alu instid0(VALU_DEP_2) | instskip(NEXT) | instid1(VALU_DEP_1)
	v_add_f64_e64 v[6:7], v[8:9], -v[28:29]
	v_add_f64_e32 v[8:9], v[6:7], v[4:5]
	s_delay_alu instid0(VALU_DEP_1) | instskip(SKIP_1) | instid1(VALU_DEP_2)
	v_mul_f64_e32 v[10:11], 0x3ff921fb54442d18, v[8:9]
	v_add_f64_e64 v[6:7], v[8:9], -v[6:7]
	v_fma_f64 v[14:15], v[8:9], s[2:3], -v[10:11]
	s_delay_alu instid0(VALU_DEP_2) | instskip(NEXT) | instid1(VALU_DEP_2)
	v_add_f64_e64 v[4:5], v[4:5], -v[6:7]
	v_fmamk_f64 v[6:7], v[8:9], 0x3c91a62633145c07, v[14:15]
	s_delay_alu instid0(VALU_DEP_1) | instskip(NEXT) | instid1(VALU_DEP_1)
	v_fmac_f64_e32 v[6:7], 0x3ff921fb54442d18, v[4:5]
	v_add_f64_e32 v[4:5], v[10:11], v[6:7]
	s_delay_alu instid0(VALU_DEP_1) | instskip(NEXT) | instid1(VALU_DEP_1)
	v_add_f64_e64 v[8:9], v[4:5], -v[10:11]
	v_add_f64_e64 v[6:7], v[6:7], -v[8:9]
	s_and_not1_saveexec_b32 s1, s1
	s_cbranch_execz .LBB1_13
	s_branch .LBB1_12
.LBB1_6:
                                        ; implicit-def: $vgpr6_vgpr7
	s_branch .LBB1_35
.LBB1_7:
                                        ; implicit-def: $vgpr6_vgpr7
	s_branch .LBB1_28
.LBB1_8:
	s_cbranch_execnz .LBB1_59
	s_branch .LBB1_35
.LBB1_9:
                                        ; implicit-def: $vgpr6_vgpr7
	s_branch .LBB1_18
.LBB1_10:
	s_cbranch_execnz .LBB1_27
	s_branch .LBB1_18
.LBB1_11:
	s_and_not1_saveexec_b32 s1, s1
	s_cbranch_execz .LBB1_13
.LBB1_12:
	s_mov_b64 s[2:3], 0x3fe45f306dc9c883
	s_delay_alu instid0(SALU_CYCLE_1) | instskip(SKIP_1) | instid1(VALU_DEP_1)
	v_mul_f64_e64 v[4:5], |v[0:1]|, s[2:3]
	s_mov_b64 s[2:3], 0xbff921fb54442d18
	v_rndne_f64_e32 v[8:9], v[4:5]
	s_delay_alu instid0(VALU_DEP_1) | instskip(SKIP_2) | instid1(VALU_DEP_3)
	v_fma_f64 v[4:5], v[8:9], s[2:3], |v[0:1]|
	v_mul_f64_e32 v[6:7], 0xbc91a62633145c00, v[8:9]
	v_cvt_i32_f64_e32 v18, v[8:9]
	v_fmamk_f64 v[16:17], v[8:9], 0xbc91a62633145c00, v[4:5]
	s_delay_alu instid0(VALU_DEP_3) | instskip(NEXT) | instid1(VALU_DEP_1)
	v_add_f64_e32 v[10:11], v[4:5], v[6:7]
	v_add_f64_e64 v[14:15], v[4:5], -v[10:11]
	s_delay_alu instid0(VALU_DEP_3) | instskip(NEXT) | instid1(VALU_DEP_2)
	v_add_f64_e64 v[4:5], v[10:11], -v[16:17]
	v_add_f64_e32 v[10:11], v[14:15], v[6:7]
	v_fmamk_f64 v[6:7], v[8:9], 0x3c91a62633145c00, v[6:7]
	s_delay_alu instid0(VALU_DEP_2) | instskip(NEXT) | instid1(VALU_DEP_1)
	v_add_f64_e32 v[4:5], v[4:5], v[10:11]
	v_add_f64_e64 v[4:5], v[4:5], -v[6:7]
	s_delay_alu instid0(VALU_DEP_1) | instskip(NEXT) | instid1(VALU_DEP_1)
	v_fmamk_f64 v[6:7], v[8:9], 0xb97b839a252049c0, v[4:5]
	v_add_f64_e32 v[4:5], v[16:17], v[6:7]
	s_delay_alu instid0(VALU_DEP_1) | instskip(NEXT) | instid1(VALU_DEP_1)
	v_add_f64_e64 v[10:11], v[4:5], -v[16:17]
	v_add_f64_e64 v[6:7], v[6:7], -v[10:11]
.LBB1_13:
	s_or_b32 exec_lo, exec_lo, s1
                                        ; implicit-def: $vgpr19
                                        ; implicit-def: $vgpr8_vgpr9
                                        ; implicit-def: $vgpr10_vgpr11
	s_and_saveexec_b32 s1, s0
	s_delay_alu instid0(SALU_CYCLE_1)
	s_xor_b32 s0, exec_lo, s1
	s_cbranch_execz .LBB1_15
; %bb.14:
	v_ldexp_f64 v[8:9], |v[0:1]|, 0xffffff80
	v_cmp_le_f64_e64 vcc_lo, 0x7b000000, |v[0:1]|
	v_trig_preop_f64 v[10:11], |v[0:1]|, 0
	v_and_b32_e32 v14, 0x7fffffff, v1
	v_trig_preop_f64 v[26:27], |v[0:1]|, 2
	s_mov_b64 s[2:3], 0x3ff921fb54442d18
	s_delay_alu instid0(VALU_DEP_2) | instskip(SKIP_2) | instid1(VALU_DEP_2)
	v_dual_mov_b32 v34, 0 :: v_dual_cndmask_b32 v9, v14, v9
	v_cndmask_b32_e32 v8, v0, v8, vcc_lo
	v_trig_preop_f64 v[14:15], |v[0:1]|, 1
	v_mul_f64_e32 v[16:17], v[10:11], v[8:9]
	v_mul_f64_e32 v[32:33], v[26:27], v[8:9]
	s_delay_alu instid0(VALU_DEP_3) | instskip(NEXT) | instid1(VALU_DEP_3)
	v_mul_f64_e32 v[20:21], v[14:15], v[8:9]
	v_fma_f64 v[10:11], v[10:11], v[8:9], -v[16:17]
	s_delay_alu instid0(VALU_DEP_2) | instskip(NEXT) | instid1(VALU_DEP_4)
	v_fma_f64 v[14:15], v[14:15], v[8:9], -v[20:21]
	v_fma_f64 v[8:9], v[26:27], v[8:9], -v[32:33]
	s_delay_alu instid0(VALU_DEP_3) | instskip(NEXT) | instid1(VALU_DEP_1)
	v_add_f64_e32 v[22:23], v[20:21], v[10:11]
	v_add_f64_e64 v[24:25], v[22:23], -v[20:21]
	v_add_f64_e32 v[30:31], v[16:17], v[22:23]
	s_delay_alu instid0(VALU_DEP_2) | instskip(SKIP_1) | instid1(VALU_DEP_3)
	v_add_f64_e64 v[28:29], v[22:23], -v[24:25]
	v_add_f64_e64 v[10:11], v[10:11], -v[24:25]
	v_ldexp_f64 v[24:25], v[30:31], -2
	s_delay_alu instid0(VALU_DEP_3) | instskip(SKIP_1) | instid1(VALU_DEP_3)
	v_add_f64_e64 v[20:21], v[20:21], -v[28:29]
	v_add_f64_e32 v[28:29], v[32:33], v[14:15]
	v_cmp_neq_f64_e64 vcc_lo, 0x7ff00000, |v[24:25]|
	s_delay_alu instid0(VALU_DEP_3) | instskip(SKIP_1) | instid1(VALU_DEP_1)
	v_add_f64_e32 v[10:11], v[10:11], v[20:21]
	v_fract_f64_e32 v[20:21], v[24:25]
	v_ldexp_f64 v[20:21], v[20:21], 2
	s_delay_alu instid0(VALU_DEP_1) | instskip(SKIP_1) | instid1(VALU_DEP_3)
	v_cndmask_b32_e32 v20, 0, v20, vcc_lo
	v_add_f64_e64 v[16:17], v[30:31], -v[16:17]
	v_cndmask_b32_e32 v21, 0, v21, vcc_lo
	s_delay_alu instid0(VALU_DEP_2) | instskip(SKIP_1) | instid1(VALU_DEP_1)
	v_add_f64_e64 v[16:17], v[22:23], -v[16:17]
	v_add_f64_e32 v[22:23], v[28:29], v[10:11]
	v_add_f64_e32 v[24:25], v[16:17], v[22:23]
	v_add_f64_e64 v[36:37], v[22:23], -v[28:29]
	s_delay_alu instid0(VALU_DEP_2) | instskip(NEXT) | instid1(VALU_DEP_2)
	v_add_f64_e32 v[30:31], v[24:25], v[20:21]
	v_add_f64_e64 v[42:43], v[22:23], -v[36:37]
	v_add_f64_e64 v[10:11], v[10:11], -v[36:37]
	;; [unrolled: 1-line block ×3, first 2 shown]
	s_delay_alu instid0(VALU_DEP_4) | instskip(SKIP_1) | instid1(VALU_DEP_3)
	v_cmp_gt_f64_e32 vcc_lo, 0, v[30:31]
	v_add_f64_e64 v[30:31], v[28:29], -v[32:33]
	v_add_f64_e64 v[16:17], v[22:23], -v[16:17]
	v_cndmask_b32_e64 v35, 0, 0x40100000, vcc_lo
	s_delay_alu instid0(VALU_DEP_3) | instskip(SKIP_2) | instid1(VALU_DEP_4)
	v_add_f64_e64 v[40:41], v[28:29], -v[30:31]
	v_add_f64_e64 v[14:15], v[14:15], -v[30:31]
	v_add_f64_e64 v[28:29], v[28:29], -v[42:43]
	v_add_f64_e32 v[20:21], v[20:21], v[34:35]
	s_delay_alu instid0(VALU_DEP_4) | instskip(NEXT) | instid1(VALU_DEP_3)
	v_add_f64_e64 v[30:31], v[32:33], -v[40:41]
	v_add_f64_e32 v[10:11], v[10:11], v[28:29]
	s_delay_alu instid0(VALU_DEP_3) | instskip(NEXT) | instid1(VALU_DEP_3)
	v_add_f64_e32 v[38:39], v[24:25], v[20:21]
	v_add_f64_e32 v[14:15], v[14:15], v[30:31]
	s_delay_alu instid0(VALU_DEP_2) | instskip(NEXT) | instid1(VALU_DEP_2)
	v_cvt_i32_f64_e32 v19, v[38:39]
	v_add_f64_e32 v[10:11], v[14:15], v[10:11]
	s_delay_alu instid0(VALU_DEP_2) | instskip(NEXT) | instid1(VALU_DEP_2)
	v_cvt_f64_i32_e32 v[36:37], v19
	v_add_f64_e32 v[8:9], v[8:9], v[10:11]
	s_delay_alu instid0(VALU_DEP_2) | instskip(NEXT) | instid1(VALU_DEP_2)
	v_add_f64_e64 v[20:21], v[20:21], -v[36:37]
	v_add_f64_e32 v[8:9], v[16:17], v[8:9]
	s_delay_alu instid0(VALU_DEP_2) | instskip(NEXT) | instid1(VALU_DEP_1)
	v_add_f64_e32 v[14:15], v[24:25], v[20:21]
	v_add_f64_e64 v[10:11], v[14:15], -v[20:21]
	v_cmp_le_f64_e32 vcc_lo, 0.5, v[14:15]
	s_delay_alu instid0(VALU_DEP_2) | instskip(SKIP_2) | instid1(VALU_DEP_3)
	v_add_f64_e64 v[10:11], v[24:25], -v[10:11]
	v_cndmask_b32_e64 v35, 0, 0x3ff00000, vcc_lo
	v_add_co_ci_u32_e64 v19, null, 0, v19, vcc_lo
	v_add_f64_e32 v[8:9], v[8:9], v[10:11]
	s_delay_alu instid0(VALU_DEP_3) | instskip(NEXT) | instid1(VALU_DEP_1)
	v_add_f64_e64 v[10:11], v[14:15], -v[34:35]
	v_add_f64_e32 v[14:15], v[10:11], v[8:9]
	s_delay_alu instid0(VALU_DEP_1) | instskip(SKIP_1) | instid1(VALU_DEP_2)
	v_mul_f64_e32 v[16:17], 0x3ff921fb54442d18, v[14:15]
	v_add_f64_e64 v[10:11], v[14:15], -v[10:11]
	v_fma_f64 v[20:21], v[14:15], s[2:3], -v[16:17]
	s_delay_alu instid0(VALU_DEP_2) | instskip(NEXT) | instid1(VALU_DEP_2)
	v_add_f64_e64 v[8:9], v[8:9], -v[10:11]
	v_fmamk_f64 v[10:11], v[14:15], 0x3c91a62633145c07, v[20:21]
	s_delay_alu instid0(VALU_DEP_1) | instskip(NEXT) | instid1(VALU_DEP_1)
	v_fmac_f64_e32 v[10:11], 0x3ff921fb54442d18, v[8:9]
	v_add_f64_e32 v[8:9], v[16:17], v[10:11]
	s_delay_alu instid0(VALU_DEP_1) | instskip(NEXT) | instid1(VALU_DEP_1)
	v_add_f64_e64 v[14:15], v[8:9], -v[16:17]
	v_add_f64_e64 v[10:11], v[10:11], -v[14:15]
	s_and_not1_saveexec_b32 s0, s0
	s_cbranch_execnz .LBB1_16
	s_branch .LBB1_17
.LBB1_15:
	s_and_not1_saveexec_b32 s0, s0
	s_cbranch_execz .LBB1_17
.LBB1_16:
	s_mov_b64 s[2:3], 0x3fe45f306dc9c883
	s_delay_alu instid0(SALU_CYCLE_1) | instskip(SKIP_1) | instid1(VALU_DEP_1)
	v_mul_f64_e64 v[8:9], |v[0:1]|, s[2:3]
	s_mov_b64 s[2:3], 0xbff921fb54442d18
	v_rndne_f64_e32 v[14:15], v[8:9]
	s_delay_alu instid0(VALU_DEP_1) | instskip(SKIP_2) | instid1(VALU_DEP_3)
	v_fma_f64 v[8:9], v[14:15], s[2:3], |v[0:1]|
	v_mul_f64_e32 v[10:11], 0xbc91a62633145c00, v[14:15]
	v_cvt_i32_f64_e32 v19, v[14:15]
	v_fmamk_f64 v[22:23], v[14:15], 0xbc91a62633145c00, v[8:9]
	s_delay_alu instid0(VALU_DEP_3) | instskip(NEXT) | instid1(VALU_DEP_1)
	v_add_f64_e32 v[16:17], v[8:9], v[10:11]
	v_add_f64_e64 v[20:21], v[8:9], -v[16:17]
	s_delay_alu instid0(VALU_DEP_3) | instskip(NEXT) | instid1(VALU_DEP_2)
	v_add_f64_e64 v[8:9], v[16:17], -v[22:23]
	v_add_f64_e32 v[16:17], v[20:21], v[10:11]
	v_fmamk_f64 v[10:11], v[14:15], 0x3c91a62633145c00, v[10:11]
	s_delay_alu instid0(VALU_DEP_2) | instskip(NEXT) | instid1(VALU_DEP_1)
	v_add_f64_e32 v[8:9], v[8:9], v[16:17]
	v_add_f64_e64 v[8:9], v[8:9], -v[10:11]
	s_delay_alu instid0(VALU_DEP_1) | instskip(NEXT) | instid1(VALU_DEP_1)
	v_fmamk_f64 v[10:11], v[14:15], 0xb97b839a252049c0, v[8:9]
	v_add_f64_e32 v[8:9], v[22:23], v[10:11]
	s_delay_alu instid0(VALU_DEP_1) | instskip(NEXT) | instid1(VALU_DEP_1)
	v_add_f64_e64 v[16:17], v[8:9], -v[22:23]
	v_add_f64_e64 v[10:11], v[10:11], -v[16:17]
.LBB1_17:
	s_or_b32 exec_lo, exec_lo, s0
	s_mov_b64 s[0:1], 0xbfe62e42fefa39ef
	v_mov_b64_e32 v[38:39], 0x3e21eeb69037ab78
	v_add_f64_e64 v[14:15], |v[2:3]|, s[0:1]
	s_mov_b64 s[0:1], 0x3e5ade156a5dcb37
	v_mov_b64_e32 v[40:41], 0x3ec71de3796cde01
	v_mov_b64_e32 v[46:47], 0xbe927e4fa17f65f6
	;; [unrolled: 1-line block ×5, first 2 shown]
	v_mul_f64_e32 v[60:61], 0.5, v[10:11]
	v_add_f64_e64 v[16:17], v[14:15], -|v[2:3]|
	s_delay_alu instid0(VALU_DEP_1) | instskip(SKIP_1) | instid1(VALU_DEP_2)
	v_add_f64_e64 v[20:21], v[16:17], -v[14:15]
	v_add_f64_e32 v[16:17], 0x3fe62e42fefa39ef, v[16:17]
	v_add_f64_e64 v[20:21], |v[2:3]|, v[20:21]
	s_delay_alu instid0(VALU_DEP_1) | instskip(NEXT) | instid1(VALU_DEP_1)
	v_add_f64_e64 v[16:17], v[20:21], -v[16:17]
	v_add_f64_e32 v[16:17], 0xbc7abc9e3b39803f, v[16:17]
	s_delay_alu instid0(VALU_DEP_1) | instskip(NEXT) | instid1(VALU_DEP_1)
	v_add_f64_e32 v[20:21], v[14:15], v[16:17]
	v_mul_f64_e32 v[22:23], 0x3ff71547652b82fe, v[20:21]
	v_add_f64_e64 v[14:15], v[14:15], -v[20:21]
	s_delay_alu instid0(VALU_DEP_2) | instskip(NEXT) | instid1(VALU_DEP_2)
	v_rndne_f64_e32 v[22:23], v[22:23]
	v_add_f64_e32 v[14:15], v[16:17], v[14:15]
	s_delay_alu instid0(VALU_DEP_2) | instskip(SKIP_1) | instid1(VALU_DEP_2)
	v_fmamk_f64 v[16:17], v[22:23], 0xbfe62e42fefa3000, v[20:21]
	v_mul_f64_e32 v[20:21], 0xbd53de6af278e000, v[22:23]
	v_add_f64_e32 v[24:25], v[14:15], v[16:17]
	s_delay_alu instid0(VALU_DEP_1) | instskip(SKIP_1) | instid1(VALU_DEP_2)
	v_add_f64_e32 v[26:27], v[24:25], v[20:21]
	v_add_f64_e64 v[16:17], v[16:17], -v[24:25]
	v_add_f64_e64 v[24:25], v[24:25], -v[26:27]
	s_delay_alu instid0(VALU_DEP_2) | instskip(NEXT) | instid1(VALU_DEP_2)
	v_add_f64_e32 v[14:15], v[14:15], v[16:17]
	v_add_f64_e32 v[16:17], v[24:25], v[20:21]
	s_delay_alu instid0(VALU_DEP_1) | instskip(SKIP_1) | instid1(VALU_DEP_2)
	v_add_f64_e32 v[14:15], v[14:15], v[16:17]
	v_mul_f64_e32 v[16:17], 0xbac9cc01f97b57a0, v[22:23]
	v_add_f64_e32 v[20:21], v[26:27], v[14:15]
	s_delay_alu instid0(VALU_DEP_1) | instskip(SKIP_1) | instid1(VALU_DEP_2)
	v_add_f64_e32 v[24:25], v[20:21], v[16:17]
	v_add_f64_e64 v[26:27], v[26:27], -v[20:21]
	v_add_f64_e64 v[20:21], v[20:21], -v[24:25]
	s_delay_alu instid0(VALU_DEP_2) | instskip(NEXT) | instid1(VALU_DEP_2)
	v_add_f64_e32 v[14:15], v[14:15], v[26:27]
	v_add_f64_e32 v[16:17], v[20:21], v[16:17]
	s_delay_alu instid0(VALU_DEP_1) | instskip(NEXT) | instid1(VALU_DEP_1)
	v_add_f64_e32 v[14:15], v[14:15], v[16:17]
	v_add_f64_e32 v[16:17], v[24:25], v[14:15]
	s_delay_alu instid0(VALU_DEP_1) | instskip(SKIP_1) | instid1(VALU_DEP_2)
	v_add_f64_e64 v[20:21], v[24:25], -v[16:17]
	v_mul_f64_e32 v[24:25], v[16:17], v[16:17]
	v_add_f64_e32 v[14:15], v[14:15], v[20:21]
	s_delay_alu instid0(VALU_DEP_2) | instskip(NEXT) | instid1(VALU_DEP_2)
	v_fma_f64 v[20:21], v[16:17], v[16:17], -v[24:25]
	v_add_f64_e32 v[26:27], v[14:15], v[14:15]
	s_delay_alu instid0(VALU_DEP_1) | instskip(SKIP_2) | instid1(SALU_CYCLE_1)
	v_fmac_f64_e32 v[20:21], v[16:17], v[26:27]
	v_fmaak_f64 v[26:27], s[0:1], v[16:17], 0x3e928af3fca7ab0c
	s_mov_b64 s[0:1], 0x408633ce8fb9f87e
	v_cmp_ge_f64_e64 s3, |v[2:3]|, s[0:1]
	v_cmp_gt_f64_e64 s0, 0x3e400000, |v[2:3]|
	v_cmp_class_f64_e64 s1, v[0:1], 0x1f8
	s_delay_alu instid0(VALU_DEP_4) | instskip(NEXT) | instid1(VALU_DEP_1)
	v_fmaak_f64 v[26:27], v[16:17], v[26:27], 0x3ec71dee623fde64
	v_fmaak_f64 v[26:27], v[16:17], v[26:27], 0x3efa01997c89e6b0
	s_delay_alu instid0(VALU_DEP_1) | instskip(NEXT) | instid1(VALU_DEP_1)
	v_fmaak_f64 v[26:27], v[16:17], v[26:27], 0x3f2a01a014761f6e
	v_fmaak_f64 v[26:27], v[16:17], v[26:27], 0x3f56c16c1852b7b0
	v_add_f64_e32 v[28:29], v[24:25], v[20:21]
	s_delay_alu instid0(VALU_DEP_2) | instskip(NEXT) | instid1(VALU_DEP_1)
	v_fmaak_f64 v[26:27], v[16:17], v[26:27], 0x3f81111111122322
	v_fmaak_f64 v[26:27], v[16:17], v[26:27], 0x3fa55555555502a1
	s_delay_alu instid0(VALU_DEP_1) | instskip(NEXT) | instid1(VALU_DEP_1)
	v_fmaak_f64 v[26:27], v[16:17], v[26:27], 0x3fc5555555555511
	v_fmaak_f64 v[26:27], v[16:17], v[26:27], 0x3fe000000000000b
	v_add_f64_e64 v[24:25], v[28:29], -v[24:25]
	s_delay_alu instid0(VALU_DEP_2) | instskip(NEXT) | instid1(VALU_DEP_2)
	v_mul_f64_e32 v[30:31], v[28:29], v[26:27]
	v_add_f64_e64 v[20:21], v[20:21], -v[24:25]
	s_delay_alu instid0(VALU_DEP_2) | instskip(NEXT) | instid1(VALU_DEP_1)
	v_fma_f64 v[24:25], v[28:29], v[26:27], -v[30:31]
	v_fmac_f64_e32 v[24:25], v[20:21], v[26:27]
	s_delay_alu instid0(VALU_DEP_1) | instskip(NEXT) | instid1(VALU_DEP_1)
	v_add_f64_e32 v[20:21], v[30:31], v[24:25]
	v_add_f64_e64 v[26:27], v[20:21], -v[30:31]
	v_add_f64_e32 v[28:29], v[16:17], v[20:21]
	s_delay_alu instid0(VALU_DEP_2) | instskip(NEXT) | instid1(VALU_DEP_2)
	v_add_f64_e64 v[24:25], v[24:25], -v[26:27]
	v_add_f64_e64 v[16:17], v[28:29], -v[16:17]
	s_delay_alu instid0(VALU_DEP_2) | instskip(NEXT) | instid1(VALU_DEP_2)
	v_add_f64_e32 v[14:15], v[14:15], v[24:25]
	v_add_f64_e64 v[16:17], v[20:21], -v[16:17]
	s_delay_alu instid0(VALU_DEP_1) | instskip(NEXT) | instid1(VALU_DEP_1)
	v_add_f64_e32 v[14:15], v[14:15], v[16:17]
	v_add_f64_e32 v[16:17], v[28:29], v[14:15]
	s_delay_alu instid0(VALU_DEP_1) | instskip(SKIP_2) | instid1(VALU_DEP_3)
	v_add_f64_e32 v[20:21], 1.0, v[16:17]
	v_add_f64_e64 v[24:25], v[16:17], -v[28:29]
	v_cvt_i32_f64_e32 v28, v[22:23]
	v_add_f64_e32 v[26:27], -1.0, v[20:21]
	s_delay_alu instid0(VALU_DEP_3) | instskip(NEXT) | instid1(VALU_DEP_2)
	v_add_f64_e64 v[14:15], v[14:15], -v[24:25]
	v_add_f64_e64 v[16:17], v[16:17], -v[26:27]
	s_delay_alu instid0(VALU_DEP_1) | instskip(NEXT) | instid1(VALU_DEP_1)
	v_add_f64_e32 v[16:17], v[14:15], v[16:17]
	v_add_f64_e32 v[22:23], v[20:21], v[16:17]
	s_delay_alu instid0(VALU_DEP_1) | instskip(SKIP_1) | instid1(VALU_DEP_2)
	v_ldexp_f64 v[14:15], v[22:23], v28
	v_add_f64_e64 v[20:21], v[22:23], -v[20:21]
	v_rcp_f64_e32 v[24:25], v[14:15]
	s_delay_alu instid0(VALU_DEP_1) | instskip(NEXT) | instid1(VALU_DEP_1)
	v_add_f64_e64 v[16:17], v[16:17], -v[20:21]
	v_ldexp_f64 v[16:17], v[16:17], v28
	s_delay_alu instid0(TRANS32_DEP_1) | instskip(NEXT) | instid1(VALU_DEP_1)
	v_fma_f64 v[26:27], -v[14:15], v[24:25], 1.0
	v_fmac_f64_e32 v[24:25], v[26:27], v[24:25]
	s_delay_alu instid0(VALU_DEP_1) | instskip(NEXT) | instid1(VALU_DEP_1)
	v_fma_f64 v[26:27], -v[14:15], v[24:25], 1.0
	v_fmac_f64_e32 v[24:25], v[26:27], v[24:25]
	s_delay_alu instid0(VALU_DEP_1) | instskip(NEXT) | instid1(VALU_DEP_1)
	v_mul_f64_e32 v[20:21], v[14:15], v[24:25]
	v_fma_f64 v[22:23], v[24:25], v[14:15], -v[20:21]
	s_delay_alu instid0(VALU_DEP_1) | instskip(NEXT) | instid1(VALU_DEP_1)
	v_fmac_f64_e32 v[22:23], v[24:25], v[16:17]
	v_add_f64_e32 v[26:27], v[20:21], v[22:23]
	s_delay_alu instid0(VALU_DEP_1) | instskip(SKIP_1) | instid1(VALU_DEP_2)
	v_add_f64_e64 v[28:29], -v[26:27], 1.0
	v_add_f64_e64 v[20:21], v[26:27], -v[20:21]
	v_add_f64_e64 v[30:31], -v[28:29], 1.0
	s_delay_alu instid0(VALU_DEP_2) | instskip(NEXT) | instid1(VALU_DEP_2)
	v_add_f64_e64 v[20:21], v[20:21], -v[22:23]
	v_add_f64_e64 v[22:23], v[30:31], -v[26:27]
	s_delay_alu instid0(VALU_DEP_1) | instskip(NEXT) | instid1(VALU_DEP_1)
	v_add_f64_e32 v[20:21], v[20:21], v[22:23]
	v_add_f64_e32 v[22:23], v[28:29], v[20:21]
	s_delay_alu instid0(VALU_DEP_1) | instskip(SKIP_1) | instid1(VALU_DEP_2)
	v_mul_f64_e32 v[26:27], v[24:25], v[22:23]
	v_add_f64_e64 v[28:29], v[28:29], -v[22:23]
	v_mul_f64_e32 v[30:31], v[14:15], v[26:27]
	s_delay_alu instid0(VALU_DEP_2) | instskip(NEXT) | instid1(VALU_DEP_2)
	v_add_f64_e32 v[20:21], v[20:21], v[28:29]
	v_fma_f64 v[32:33], v[26:27], v[14:15], -v[30:31]
	s_delay_alu instid0(VALU_DEP_1) | instskip(NEXT) | instid1(VALU_DEP_1)
	v_fmac_f64_e32 v[32:33], v[26:27], v[16:17]
	v_add_f64_e32 v[34:35], v[30:31], v[32:33]
	s_delay_alu instid0(VALU_DEP_1) | instskip(SKIP_2) | instid1(VALU_DEP_3)
	v_add_f64_e64 v[36:37], v[22:23], -v[34:35]
	v_add_f64_e64 v[28:29], v[34:35], -v[30:31]
	v_mov_b64_e32 v[30:31], 0xbe5ae600b42fdfa7
	v_add_f64_e64 v[22:23], v[22:23], -v[36:37]
	s_delay_alu instid0(VALU_DEP_3) | instskip(NEXT) | instid1(VALU_DEP_2)
	v_add_f64_e64 v[28:29], v[28:29], -v[32:33]
	v_add_f64_e64 v[22:23], v[22:23], -v[34:35]
	s_delay_alu instid0(VALU_DEP_1) | instskip(SKIP_1) | instid1(VALU_DEP_2)
	v_add_f64_e32 v[20:21], v[20:21], v[22:23]
	v_add_f64_e32 v[22:23], v[24:25], v[26:27]
	;; [unrolled: 1-line block ×3, first 2 shown]
	s_delay_alu instid0(VALU_DEP_2) | instskip(NEXT) | instid1(VALU_DEP_2)
	v_add_f64_e64 v[28:29], v[22:23], -v[24:25]
	v_add_f64_e32 v[20:21], v[36:37], v[20:21]
	s_delay_alu instid0(VALU_DEP_2) | instskip(NEXT) | instid1(VALU_DEP_2)
	v_add_f64_e64 v[26:27], v[26:27], -v[28:29]
	v_mul_f64_e32 v[20:21], v[24:25], v[20:21]
	v_mul_f64_e32 v[24:25], v[4:5], v[4:5]
	s_delay_alu instid0(VALU_DEP_2) | instskip(SKIP_1) | instid1(VALU_DEP_3)
	v_add_f64_e32 v[20:21], v[26:27], v[20:21]
	v_mul_f64_e32 v[26:27], v[8:9], v[8:9]
	v_fmamk_f64 v[32:33], v[24:25], 0x3de5e0b2f9a43bb8, v[30:31]
	v_mul_f64_e32 v[34:35], 0.5, v[24:25]
	v_fmamk_f64 v[42:43], v[24:25], 0xbda907db46cc5e42, v[38:39]
	v_mul_f64_e64 v[50:51], v[4:5], -v[24:25]
	s_delay_alu instid0(VALU_DEP_4) | instskip(NEXT) | instid1(VALU_DEP_1)
	v_fmaak_f64 v[32:33], v[24:25], v[32:33], 0x3ec71de3796cde01
	v_fmaak_f64 v[32:33], v[24:25], v[32:33], 0xbf2a01a019e83e5c
	s_delay_alu instid0(VALU_DEP_1) | instskip(SKIP_4) | instid1(VALU_DEP_4)
	v_fmaak_f64 v[32:33], v[24:25], v[32:33], 0x3f81111111110bb3
	v_add_f64_e32 v[28:29], v[22:23], v[20:21]
	v_fmac_f64_e32 v[30:31], 0x3de5e0b2f9a43bb8, v[26:27]
	v_fmac_f64_e32 v[38:39], 0xbda907db46cc5e42, v[26:27]
	v_mul_f64_e32 v[44:45], 0.5, v[26:27]
	v_ldexp_f64 v[36:37], v[28:29], -2
	s_delay_alu instid0(VALU_DEP_4)
	v_fmac_f64_e32 v[40:41], v[26:27], v[30:31]
	v_add_f64_e64 v[30:31], -v[34:35], 1.0
	v_add_f64_e64 v[22:23], v[28:29], -v[22:23]
	v_fmac_f64_e32 v[46:47], v[26:27], v[38:39]
	v_add_f64_e64 v[38:39], -v[44:45], 1.0
	v_add_f64_e64 v[28:29], v[14:15], -v[36:37]
	v_fmac_f64_e32 v[48:49], v[26:27], v[40:41]
	v_mul_f64_e32 v[40:41], 0.5, v[6:7]
	v_add_f64_e64 v[52:53], -v[30:31], 1.0
	v_add_f64_e64 v[20:21], v[20:21], -v[22:23]
	v_add_f64_e32 v[22:23], v[14:15], v[36:37]
	v_fmac_f64_e32 v[56:57], v[26:27], v[46:47]
	v_add_f64_e64 v[46:47], -v[38:39], 1.0
	v_add_f64_e64 v[54:55], v[14:15], -v[28:29]
	v_fmac_f64_e32 v[58:59], v[26:27], v[48:49]
	v_mul_f64_e64 v[48:49], v[8:9], -v[26:27]
	v_fmac_f64_e32 v[40:41], v[50:51], v[32:33]
	v_add_f64_e64 v[32:33], v[52:53], -v[34:35]
	v_ldexp_f64 v[20:21], v[20:21], -2
	v_add_f64_e64 v[14:15], v[22:23], -v[14:15]
	v_mov_b64_e32 v[52:53], 0xbf56c16c16c16967
	v_add_f64_e64 v[44:45], v[46:47], -v[44:45]
	v_mul_f64_e32 v[46:47], v[24:25], v[24:25]
	s_delay_alu instid0(VALU_DEP_3)
	v_fmac_f64_e32 v[52:53], v[26:27], v[56:57]
	v_add_f64_e64 v[34:35], v[54:55], -v[36:37]
	v_fmac_f64_e32 v[60:61], v[48:49], v[58:59]
	v_fma_f64 v[40:41], v[24:25], v[40:41], -v[6:7]
	v_fma_f64 v[6:7], v[4:5], -v[6:7], v[32:33]
	v_add_f64_e32 v[32:33], v[16:17], v[20:21]
	v_add_f64_e64 v[14:15], v[36:37], -v[14:15]
	v_mov_b64_e32 v[36:37], 0x3fa5555555555555
	s_delay_alu instid0(VALU_DEP_1)
	v_fmac_f64_e32 v[36:37], v[26:27], v[52:53]
	v_add_f64_e32 v[16:17], v[16:17], v[34:35]
	v_fmaak_f64 v[34:35], v[24:25], v[42:43], 0xbe927e4fa17f65f6
	v_mul_f64_e32 v[42:43], v[26:27], v[26:27]
	v_fmac_f64_e32 v[40:41], 0xbfc5555555555555, v[50:51]
	v_add_f64_e32 v[14:15], v[32:33], v[14:15]
	s_delay_alu instid0(VALU_DEP_4) | instskip(NEXT) | instid1(VALU_DEP_1)
	v_fmaak_f64 v[34:35], v[24:25], v[34:35], 0x3efa01a019f4ec90
	v_fmaak_f64 v[34:35], v[24:25], v[34:35], 0xbf56c16c16c16967
	s_delay_alu instid0(VALU_DEP_1) | instskip(SKIP_2) | instid1(VALU_DEP_3)
	v_fmaak_f64 v[24:25], v[24:25], v[34:35], 0x3fa5555555555555
	v_fma_f64 v[34:35], v[8:9], -v[10:11], v[44:45]
	v_fma_f64 v[10:11], v[26:27], v[60:61], -v[10:11]
	v_fmac_f64_e32 v[6:7], v[46:47], v[24:25]
	v_add_f64_e64 v[16:17], v[16:17], -v[20:21]
	v_add_f64_e64 v[4:5], v[4:5], -v[40:41]
	v_add_f64_e32 v[14:15], v[22:23], v[14:15]
	v_and_b32_e32 v22, 1, v18
	s_delay_alu instid0(VALU_DEP_1)
	v_cmp_eq_u32_e32 vcc_lo, 0, v22
	v_fmac_f64_e32 v[34:35], v[42:43], v[36:37]
	v_fmac_f64_e32 v[10:11], 0xbfc5555555555555, v[48:49]
	v_add_f64_e32 v[6:7], v[30:31], v[6:7]
	v_add_f64_e32 v[16:17], v[28:29], v[16:17]
	v_xor_b32_e32 v5, 0x80000000, v5
	v_add_f64_e32 v[20:21], v[38:39], v[34:35]
	v_add_f64_e64 v[8:9], v[8:9], -v[10:11]
	v_and_b32_e32 v10, 1, v19
	v_cndmask_b32_e64 v11, v15, 0x7ff00000, s3
	v_and_b32_e32 v15, 0x7fffffff, v3
	v_cndmask_b32_e32 v4, v4, v6, vcc_lo
	s_delay_alu instid0(VALU_DEP_4) | instskip(SKIP_4) | instid1(VALU_DEP_4)
	v_cmp_eq_u32_e64 s2, 0, v10
	v_lshlrev_b32_e32 v10, 30, v19
	v_cndmask_b32_e64 v6, v16, 0, s3
	v_dual_cndmask_b32 v5, v5, v7, vcc_lo :: v_dual_lshlrev_b32 v7, 30, v18
	v_cndmask_b32_e64 v16, v17, 0x7ff00000, s3
	v_dual_cndmask_b32 v4, 0, v4, s1 :: v_dual_bitop2_b32 v10, v10, v1 bitop3:0x14
	s_delay_alu instid0(VALU_DEP_4) | instskip(NEXT) | instid1(VALU_DEP_4)
	v_cndmask_b32_e64 v6, v6, v2, s0
	v_bitop3_b32 v5, v5, v7, 0x80000000 bitop3:0x78
	s_delay_alu instid0(VALU_DEP_4) | instskip(NEXT) | instid1(VALU_DEP_2)
	v_cndmask_b32_e64 v15, v16, v15, s0
	v_cndmask_b32_e64 v5, 0x7ff80000, v5, s1
	v_dual_cndmask_b32 v9, v21, v9, s2 :: v_dual_cndmask_b32 v8, v20, v8, s2
	s_delay_alu instid0(VALU_DEP_1) | instskip(SKIP_1) | instid1(VALU_DEP_3)
	v_bitop3_b32 v7, v9, v10, 0x80000000 bitop3:0x78
	v_cndmask_b32_e64 v10, v14, 0, s3
	v_cndmask_b32_e64 v8, 0, v8, s1
	s_delay_alu instid0(VALU_DEP_3) | instskip(SKIP_1) | instid1(VALU_DEP_4)
	v_cndmask_b32_e64 v9, 0x7ff80000, v7, s1
	v_bfi_b32 v7, 0x7fffffff, v15, v3
	v_mul_f64_e32 v[4:5], v[10:11], v[4:5]
	s_delay_alu instid0(VALU_DEP_2)
	v_mul_f64_e64 v[6:7], v[6:7], -v[8:9]
	s_cbranch_execnz .LBB1_27
.LBB1_18:
	s_wait_loadcnt 0x0
	v_cmp_ngt_f64_e64 s0, 0x41d00000, |v[0:1]|
	v_trig_preop_f64 v[18:19], |v[0:1]|, 0
	v_trig_preop_f64 v[16:17], |v[0:1]|, 1
	v_ldexp_f64 v[20:21], |v[0:1]|, 0xffffff80
	v_trig_preop_f64 v[14:15], |v[0:1]|, 2
                                        ; implicit-def: $vgpr22
                                        ; implicit-def: $vgpr4_vgpr5
                                        ; implicit-def: $vgpr6_vgpr7
	s_and_saveexec_b32 s1, s0
	s_delay_alu instid0(SALU_CYCLE_1)
	s_xor_b32 s1, exec_lo, s1
	s_cbranch_execz .LBB1_20
; %bb.19:
	v_cmp_le_f64_e64 vcc_lo, 0x7b000000, |v[0:1]|
	v_and_b32_e32 v4, 0x7fffffff, v1
	s_mov_b64 s[2:3], 0x3ff921fb54442d18
	s_delay_alu instid0(VALU_DEP_1) | instskip(SKIP_1) | instid1(VALU_DEP_1)
	v_dual_mov_b32 v34, 0 :: v_dual_cndmask_b32 v5, v4, v21
	v_cndmask_b32_e32 v4, v0, v20, vcc_lo
	v_mul_f64_e32 v[6:7], v[18:19], v[4:5]
	v_mul_f64_e32 v[8:9], v[16:17], v[4:5]
	s_delay_alu instid0(VALU_DEP_2) | instskip(NEXT) | instid1(VALU_DEP_1)
	v_fma_f64 v[10:11], v[18:19], v[4:5], -v[6:7]
	v_add_f64_e32 v[22:23], v[8:9], v[10:11]
	s_delay_alu instid0(VALU_DEP_1) | instskip(SKIP_1) | instid1(VALU_DEP_2)
	v_add_f64_e64 v[24:25], v[22:23], -v[8:9]
	v_add_f64_e32 v[28:29], v[6:7], v[22:23]
	v_add_f64_e64 v[26:27], v[22:23], -v[24:25]
	s_delay_alu instid0(VALU_DEP_2) | instskip(SKIP_2) | instid1(VALU_DEP_3)
	v_add_f64_e64 v[6:7], v[28:29], -v[6:7]
	v_add_f64_e64 v[10:11], v[10:11], -v[24:25]
	v_ldexp_f64 v[24:25], v[28:29], -2
	v_add_f64_e64 v[6:7], v[22:23], -v[6:7]
	v_mul_f64_e32 v[30:31], v[14:15], v[4:5]
	v_fma_f64 v[32:33], v[16:17], v[4:5], -v[8:9]
	v_add_f64_e64 v[8:9], v[8:9], -v[26:27]
	v_cmp_neq_f64_e64 vcc_lo, 0x7ff00000, |v[24:25]|
	s_delay_alu instid0(VALU_DEP_4) | instskip(NEXT) | instid1(VALU_DEP_4)
	v_fma_f64 v[4:5], v[14:15], v[4:5], -v[30:31]
	v_add_f64_e32 v[26:27], v[30:31], v[32:33]
	s_delay_alu instid0(VALU_DEP_4) | instskip(SKIP_1) | instid1(VALU_DEP_2)
	v_add_f64_e32 v[8:9], v[10:11], v[8:9]
	v_fract_f64_e32 v[10:11], v[24:25]
	v_add_f64_e32 v[22:23], v[26:27], v[8:9]
	s_delay_alu instid0(VALU_DEP_2) | instskip(NEXT) | instid1(VALU_DEP_2)
	v_ldexp_f64 v[10:11], v[10:11], 2
	v_add_f64_e32 v[24:25], v[6:7], v[22:23]
	s_delay_alu instid0(VALU_DEP_2) | instskip(SKIP_1) | instid1(VALU_DEP_2)
	v_dual_cndmask_b32 v11, 0, v11 :: v_dual_cndmask_b32 v10, 0, v10
	v_add_f64_e64 v[36:37], v[22:23], -v[26:27]
	v_add_f64_e32 v[28:29], v[24:25], v[10:11]
	v_add_f64_e64 v[6:7], v[24:25], -v[6:7]
	s_delay_alu instid0(VALU_DEP_3) | instskip(SKIP_1) | instid1(VALU_DEP_4)
	v_add_f64_e64 v[42:43], v[22:23], -v[36:37]
	v_add_f64_e64 v[8:9], v[8:9], -v[36:37]
	v_cmp_gt_f64_e32 vcc_lo, 0, v[28:29]
	v_add_f64_e64 v[28:29], v[26:27], -v[30:31]
	v_add_f64_e64 v[6:7], v[22:23], -v[6:7]
	v_cndmask_b32_e64 v35, 0, 0x40100000, vcc_lo
	s_delay_alu instid0(VALU_DEP_3) | instskip(SKIP_2) | instid1(VALU_DEP_4)
	v_add_f64_e64 v[40:41], v[26:27], -v[28:29]
	v_add_f64_e64 v[28:29], v[32:33], -v[28:29]
	;; [unrolled: 1-line block ×3, first 2 shown]
	v_add_f64_e32 v[10:11], v[10:11], v[34:35]
	s_delay_alu instid0(VALU_DEP_4) | instskip(NEXT) | instid1(VALU_DEP_3)
	v_add_f64_e64 v[32:33], v[30:31], -v[40:41]
	v_add_f64_e32 v[8:9], v[8:9], v[26:27]
	s_delay_alu instid0(VALU_DEP_3) | instskip(NEXT) | instid1(VALU_DEP_3)
	v_add_f64_e32 v[38:39], v[24:25], v[10:11]
	v_add_f64_e32 v[28:29], v[28:29], v[32:33]
	s_delay_alu instid0(VALU_DEP_2) | instskip(NEXT) | instid1(VALU_DEP_2)
	v_cvt_i32_f64_e32 v35, v[38:39]
	v_add_f64_e32 v[8:9], v[28:29], v[8:9]
	s_delay_alu instid0(VALU_DEP_2) | instskip(NEXT) | instid1(VALU_DEP_2)
	v_cvt_f64_i32_e32 v[36:37], v35
	v_add_f64_e32 v[4:5], v[4:5], v[8:9]
	s_delay_alu instid0(VALU_DEP_2) | instskip(NEXT) | instid1(VALU_DEP_2)
	v_add_f64_e64 v[10:11], v[10:11], -v[36:37]
	v_add_f64_e32 v[4:5], v[6:7], v[4:5]
	s_delay_alu instid0(VALU_DEP_2) | instskip(NEXT) | instid1(VALU_DEP_1)
	v_add_f64_e32 v[26:27], v[24:25], v[10:11]
	v_add_f64_e64 v[8:9], v[26:27], -v[10:11]
	v_cmp_le_f64_e32 vcc_lo, 0.5, v[26:27]
	s_delay_alu instid0(VALU_DEP_2) | instskip(SKIP_2) | instid1(VALU_DEP_3)
	v_add_f64_e64 v[6:7], v[24:25], -v[8:9]
	v_add_co_ci_u32_e64 v22, null, 0, v35, vcc_lo
	v_cndmask_b32_e64 v35, 0, 0x3ff00000, vcc_lo
	v_add_f64_e32 v[4:5], v[4:5], v[6:7]
	s_delay_alu instid0(VALU_DEP_2) | instskip(NEXT) | instid1(VALU_DEP_1)
	v_add_f64_e64 v[6:7], v[26:27], -v[34:35]
	v_add_f64_e32 v[8:9], v[6:7], v[4:5]
	s_delay_alu instid0(VALU_DEP_1) | instskip(SKIP_1) | instid1(VALU_DEP_2)
	v_mul_f64_e32 v[10:11], 0x3ff921fb54442d18, v[8:9]
	v_add_f64_e64 v[6:7], v[8:9], -v[6:7]
	v_fma_f64 v[24:25], v[8:9], s[2:3], -v[10:11]
	s_delay_alu instid0(VALU_DEP_2) | instskip(NEXT) | instid1(VALU_DEP_2)
	v_add_f64_e64 v[4:5], v[4:5], -v[6:7]
	v_fmamk_f64 v[6:7], v[8:9], 0x3c91a62633145c07, v[24:25]
	s_delay_alu instid0(VALU_DEP_1) | instskip(NEXT) | instid1(VALU_DEP_1)
	v_fmac_f64_e32 v[6:7], 0x3ff921fb54442d18, v[4:5]
	v_add_f64_e32 v[4:5], v[10:11], v[6:7]
	s_delay_alu instid0(VALU_DEP_1) | instskip(NEXT) | instid1(VALU_DEP_1)
	v_add_f64_e64 v[8:9], v[4:5], -v[10:11]
	v_add_f64_e64 v[6:7], v[6:7], -v[8:9]
	s_and_not1_saveexec_b32 s1, s1
	s_cbranch_execz .LBB1_22
	s_branch .LBB1_21
.LBB1_20:
	s_and_not1_saveexec_b32 s1, s1
	s_cbranch_execz .LBB1_22
.LBB1_21:
	s_mov_b64 s[2:3], 0x3fe45f306dc9c883
	s_delay_alu instid0(SALU_CYCLE_1) | instskip(SKIP_1) | instid1(VALU_DEP_1)
	v_mul_f64_e64 v[4:5], |v[0:1]|, s[2:3]
	s_mov_b64 s[2:3], 0xbff921fb54442d18
	v_rndne_f64_e32 v[8:9], v[4:5]
	s_delay_alu instid0(VALU_DEP_1) | instskip(SKIP_1) | instid1(VALU_DEP_2)
	v_fma_f64 v[4:5], v[8:9], s[2:3], |v[0:1]|
	v_mul_f64_e32 v[6:7], 0xbc91a62633145c00, v[8:9]
	v_fmamk_f64 v[24:25], v[8:9], 0xbc91a62633145c00, v[4:5]
	s_delay_alu instid0(VALU_DEP_2) | instskip(NEXT) | instid1(VALU_DEP_1)
	v_add_f64_e32 v[10:11], v[4:5], v[6:7]
	v_add_f64_e64 v[22:23], v[4:5], -v[10:11]
	s_delay_alu instid0(VALU_DEP_3) | instskip(NEXT) | instid1(VALU_DEP_2)
	v_add_f64_e64 v[4:5], v[10:11], -v[24:25]
	v_add_f64_e32 v[10:11], v[22:23], v[6:7]
	v_fmamk_f64 v[6:7], v[8:9], 0x3c91a62633145c00, v[6:7]
	v_cvt_i32_f64_e32 v22, v[8:9]
	s_delay_alu instid0(VALU_DEP_3) | instskip(NEXT) | instid1(VALU_DEP_1)
	v_add_f64_e32 v[4:5], v[4:5], v[10:11]
	v_add_f64_e64 v[4:5], v[4:5], -v[6:7]
	s_delay_alu instid0(VALU_DEP_1) | instskip(NEXT) | instid1(VALU_DEP_1)
	v_fmamk_f64 v[6:7], v[8:9], 0xb97b839a252049c0, v[4:5]
	v_add_f64_e32 v[4:5], v[24:25], v[6:7]
	s_delay_alu instid0(VALU_DEP_1) | instskip(NEXT) | instid1(VALU_DEP_1)
	v_add_f64_e64 v[10:11], v[4:5], -v[24:25]
	v_add_f64_e64 v[6:7], v[6:7], -v[10:11]
.LBB1_22:
	s_or_b32 exec_lo, exec_lo, s1
                                        ; implicit-def: $vgpr23
                                        ; implicit-def: $vgpr8_vgpr9
                                        ; implicit-def: $vgpr10_vgpr11
	s_and_saveexec_b32 s1, s0
	s_delay_alu instid0(SALU_CYCLE_1)
	s_xor_b32 s0, exec_lo, s1
	s_cbranch_execz .LBB1_24
; %bb.23:
	v_cmp_le_f64_e64 vcc_lo, 0x7b000000, |v[0:1]|
	v_and_b32_e32 v8, 0x7fffffff, v1
	s_mov_b64 s[2:3], 0x3ff921fb54442d18
	s_delay_alu instid0(VALU_DEP_1) | instskip(SKIP_1) | instid1(VALU_DEP_1)
	v_dual_mov_b32 v34, 0 :: v_dual_cndmask_b32 v9, v8, v21
	v_cndmask_b32_e32 v8, v0, v20, vcc_lo
	v_mul_f64_e32 v[10:11], v[18:19], v[8:9]
	v_mul_f64_e32 v[20:21], v[16:17], v[8:9]
	s_delay_alu instid0(VALU_DEP_2) | instskip(NEXT) | instid1(VALU_DEP_1)
	v_fma_f64 v[18:19], v[18:19], v[8:9], -v[10:11]
	v_add_f64_e32 v[24:25], v[20:21], v[18:19]
	s_delay_alu instid0(VALU_DEP_1) | instskip(SKIP_1) | instid1(VALU_DEP_2)
	v_add_f64_e64 v[26:27], v[24:25], -v[20:21]
	v_add_f64_e32 v[30:31], v[10:11], v[24:25]
	v_add_f64_e64 v[28:29], v[24:25], -v[26:27]
	v_add_f64_e64 v[18:19], v[18:19], -v[26:27]
	s_delay_alu instid0(VALU_DEP_3)
	v_ldexp_f64 v[26:27], v[30:31], -2
	v_add_f64_e64 v[10:11], v[30:31], -v[10:11]
	v_fma_f64 v[16:17], v[16:17], v[8:9], -v[20:21]
	v_mul_f64_e32 v[32:33], v[14:15], v[8:9]
	v_add_f64_e64 v[20:21], v[20:21], -v[28:29]
	v_cmp_neq_f64_e64 vcc_lo, 0x7ff00000, |v[26:27]|
	s_delay_alu instid0(VALU_DEP_3) | instskip(SKIP_1) | instid1(VALU_DEP_4)
	v_add_f64_e32 v[28:29], v[32:33], v[16:17]
	v_fma_f64 v[8:9], v[14:15], v[8:9], -v[32:33]
	v_add_f64_e32 v[18:19], v[18:19], v[20:21]
	v_fract_f64_e32 v[20:21], v[26:27]
	s_delay_alu instid0(VALU_DEP_1) | instskip(NEXT) | instid1(VALU_DEP_1)
	v_ldexp_f64 v[20:21], v[20:21], 2
	v_dual_add_f64 v[10:11], v[24:25], -v[10:11] :: v_dual_cndmask_b32 v21, 0, v21, vcc_lo
	s_delay_alu instid0(VALU_DEP_2) | instskip(NEXT) | instid1(VALU_DEP_1)
	v_dual_add_f64 v[24:25], v[28:29], v[18:19] :: v_dual_cndmask_b32 v20, 0, v20, vcc_lo
	v_add_f64_e32 v[26:27], v[10:11], v[24:25]
	v_add_f64_e64 v[36:37], v[24:25], -v[28:29]
	s_delay_alu instid0(VALU_DEP_2) | instskip(NEXT) | instid1(VALU_DEP_2)
	v_add_f64_e32 v[30:31], v[26:27], v[20:21]
	v_add_f64_e64 v[42:43], v[24:25], -v[36:37]
	v_add_f64_e64 v[18:19], v[18:19], -v[36:37]
	;; [unrolled: 1-line block ×3, first 2 shown]
	s_delay_alu instid0(VALU_DEP_4) | instskip(SKIP_1) | instid1(VALU_DEP_3)
	v_cmp_gt_f64_e32 vcc_lo, 0, v[30:31]
	v_add_f64_e64 v[30:31], v[28:29], -v[32:33]
	v_add_f64_e64 v[10:11], v[24:25], -v[10:11]
	v_cndmask_b32_e64 v35, 0, 0x40100000, vcc_lo
	s_delay_alu instid0(VALU_DEP_3) | instskip(SKIP_2) | instid1(VALU_DEP_4)
	v_add_f64_e64 v[40:41], v[28:29], -v[30:31]
	v_add_f64_e64 v[16:17], v[16:17], -v[30:31]
	;; [unrolled: 1-line block ×3, first 2 shown]
	v_add_f64_e32 v[20:21], v[20:21], v[34:35]
	s_delay_alu instid0(VALU_DEP_4) | instskip(NEXT) | instid1(VALU_DEP_3)
	v_add_f64_e64 v[30:31], v[32:33], -v[40:41]
	v_add_f64_e32 v[18:19], v[18:19], v[28:29]
	s_delay_alu instid0(VALU_DEP_3) | instskip(NEXT) | instid1(VALU_DEP_3)
	v_add_f64_e32 v[38:39], v[26:27], v[20:21]
	v_add_f64_e32 v[16:17], v[16:17], v[30:31]
	s_delay_alu instid0(VALU_DEP_2) | instskip(NEXT) | instid1(VALU_DEP_2)
	v_cvt_i32_f64_e32 v23, v[38:39]
	v_add_f64_e32 v[14:15], v[16:17], v[18:19]
	s_delay_alu instid0(VALU_DEP_2) | instskip(NEXT) | instid1(VALU_DEP_2)
	v_cvt_f64_i32_e32 v[36:37], v23
	v_add_f64_e32 v[8:9], v[8:9], v[14:15]
	s_delay_alu instid0(VALU_DEP_2) | instskip(NEXT) | instid1(VALU_DEP_2)
	v_add_f64_e64 v[20:21], v[20:21], -v[36:37]
	v_add_f64_e32 v[8:9], v[10:11], v[8:9]
	s_delay_alu instid0(VALU_DEP_2) | instskip(NEXT) | instid1(VALU_DEP_1)
	v_add_f64_e32 v[16:17], v[26:27], v[20:21]
	v_add_f64_e64 v[14:15], v[16:17], -v[20:21]
	v_cmp_le_f64_e32 vcc_lo, 0.5, v[16:17]
	s_delay_alu instid0(VALU_DEP_2) | instskip(SKIP_2) | instid1(VALU_DEP_3)
	v_add_f64_e64 v[10:11], v[26:27], -v[14:15]
	v_cndmask_b32_e64 v35, 0, 0x3ff00000, vcc_lo
	v_add_co_ci_u32_e64 v23, null, 0, v23, vcc_lo
	v_add_f64_e32 v[8:9], v[8:9], v[10:11]
	s_delay_alu instid0(VALU_DEP_3) | instskip(NEXT) | instid1(VALU_DEP_1)
	v_add_f64_e64 v[10:11], v[16:17], -v[34:35]
	v_add_f64_e32 v[14:15], v[10:11], v[8:9]
	s_delay_alu instid0(VALU_DEP_1) | instskip(SKIP_1) | instid1(VALU_DEP_2)
	v_mul_f64_e32 v[16:17], 0x3ff921fb54442d18, v[14:15]
	v_add_f64_e64 v[10:11], v[14:15], -v[10:11]
	v_fma_f64 v[18:19], v[14:15], s[2:3], -v[16:17]
	s_delay_alu instid0(VALU_DEP_2) | instskip(NEXT) | instid1(VALU_DEP_2)
	v_add_f64_e64 v[8:9], v[8:9], -v[10:11]
	v_fmamk_f64 v[10:11], v[14:15], 0x3c91a62633145c07, v[18:19]
	s_delay_alu instid0(VALU_DEP_1) | instskip(NEXT) | instid1(VALU_DEP_1)
	v_fmac_f64_e32 v[10:11], 0x3ff921fb54442d18, v[8:9]
	v_add_f64_e32 v[8:9], v[16:17], v[10:11]
	s_delay_alu instid0(VALU_DEP_1) | instskip(NEXT) | instid1(VALU_DEP_1)
	v_add_f64_e64 v[14:15], v[8:9], -v[16:17]
	v_add_f64_e64 v[10:11], v[10:11], -v[14:15]
	s_and_not1_saveexec_b32 s0, s0
	s_cbranch_execnz .LBB1_25
	s_branch .LBB1_26
.LBB1_24:
	s_and_not1_saveexec_b32 s0, s0
	s_cbranch_execz .LBB1_26
.LBB1_25:
	s_mov_b64 s[2:3], 0x3fe45f306dc9c883
	s_delay_alu instid0(SALU_CYCLE_1) | instskip(SKIP_1) | instid1(VALU_DEP_1)
	v_mul_f64_e64 v[8:9], |v[0:1]|, s[2:3]
	s_mov_b64 s[2:3], 0xbff921fb54442d18
	v_rndne_f64_e32 v[14:15], v[8:9]
	s_delay_alu instid0(VALU_DEP_1) | instskip(SKIP_2) | instid1(VALU_DEP_3)
	v_fma_f64 v[8:9], v[14:15], s[2:3], |v[0:1]|
	v_mul_f64_e32 v[10:11], 0xbc91a62633145c00, v[14:15]
	v_cvt_i32_f64_e32 v23, v[14:15]
	v_fmamk_f64 v[20:21], v[14:15], 0xbc91a62633145c00, v[8:9]
	s_delay_alu instid0(VALU_DEP_3) | instskip(NEXT) | instid1(VALU_DEP_1)
	v_add_f64_e32 v[16:17], v[8:9], v[10:11]
	v_add_f64_e64 v[18:19], v[8:9], -v[16:17]
	s_delay_alu instid0(VALU_DEP_3) | instskip(NEXT) | instid1(VALU_DEP_2)
	v_add_f64_e64 v[8:9], v[16:17], -v[20:21]
	v_add_f64_e32 v[16:17], v[18:19], v[10:11]
	v_fmamk_f64 v[10:11], v[14:15], 0x3c91a62633145c00, v[10:11]
	s_delay_alu instid0(VALU_DEP_2) | instskip(NEXT) | instid1(VALU_DEP_1)
	v_add_f64_e32 v[8:9], v[8:9], v[16:17]
	v_add_f64_e64 v[8:9], v[8:9], -v[10:11]
	s_delay_alu instid0(VALU_DEP_1) | instskip(NEXT) | instid1(VALU_DEP_1)
	v_fmamk_f64 v[10:11], v[14:15], 0xb97b839a252049c0, v[8:9]
	v_add_f64_e32 v[8:9], v[20:21], v[10:11]
	s_delay_alu instid0(VALU_DEP_1) | instskip(NEXT) | instid1(VALU_DEP_1)
	v_add_f64_e64 v[16:17], v[8:9], -v[20:21]
	v_add_f64_e64 v[10:11], v[10:11], -v[16:17]
.LBB1_26:
	s_or_b32 exec_lo, exec_lo, s0
	s_mov_b64 s[0:1], 0xbfe62e42fefa39ef
	v_mov_b64_e32 v[38:39], 0x3ec71de3796cde01
	v_add_f64_e64 v[14:15], |v[2:3]|, s[0:1]
	s_mov_b64 s[0:1], 0x3e5ade156a5dcb37
	v_mov_b64_e32 v[40:41], 0x3e21eeb69037ab78
	v_mov_b64_e32 v[46:47], 0xbf2a01a019e83e5c
	v_mov_b64_e32 v[48:49], 0xbe927e4fa17f65f6
	v_mov_b64_e32 v[56:57], 0x3f81111111110bb3
	v_mov_b64_e32 v[58:59], 0x3efa01a019f4ec90
	v_mul_f64_e32 v[60:61], 0.5, v[10:11]
	v_add_f64_e64 v[16:17], v[14:15], -|v[2:3]|
	s_delay_alu instid0(VALU_DEP_1) | instskip(SKIP_1) | instid1(VALU_DEP_2)
	v_add_f64_e64 v[18:19], v[16:17], -v[14:15]
	v_add_f64_e32 v[16:17], 0x3fe62e42fefa39ef, v[16:17]
	v_add_f64_e64 v[18:19], |v[2:3]|, v[18:19]
	s_delay_alu instid0(VALU_DEP_1) | instskip(NEXT) | instid1(VALU_DEP_1)
	v_add_f64_e64 v[16:17], v[18:19], -v[16:17]
	v_add_f64_e32 v[16:17], 0xbc7abc9e3b39803f, v[16:17]
	s_delay_alu instid0(VALU_DEP_1) | instskip(NEXT) | instid1(VALU_DEP_1)
	v_add_f64_e32 v[18:19], v[14:15], v[16:17]
	v_mul_f64_e32 v[20:21], 0x3ff71547652b82fe, v[18:19]
	v_add_f64_e64 v[14:15], v[14:15], -v[18:19]
	s_delay_alu instid0(VALU_DEP_2) | instskip(NEXT) | instid1(VALU_DEP_2)
	v_rndne_f64_e32 v[20:21], v[20:21]
	v_add_f64_e32 v[14:15], v[16:17], v[14:15]
	s_delay_alu instid0(VALU_DEP_2) | instskip(SKIP_1) | instid1(VALU_DEP_2)
	v_fmamk_f64 v[16:17], v[20:21], 0xbfe62e42fefa3000, v[18:19]
	v_mul_f64_e32 v[18:19], 0xbd53de6af278e000, v[20:21]
	v_add_f64_e32 v[24:25], v[14:15], v[16:17]
	s_delay_alu instid0(VALU_DEP_1) | instskip(SKIP_1) | instid1(VALU_DEP_2)
	v_add_f64_e32 v[26:27], v[24:25], v[18:19]
	v_add_f64_e64 v[16:17], v[16:17], -v[24:25]
	v_add_f64_e64 v[24:25], v[24:25], -v[26:27]
	s_delay_alu instid0(VALU_DEP_2) | instskip(NEXT) | instid1(VALU_DEP_2)
	v_add_f64_e32 v[14:15], v[14:15], v[16:17]
	v_add_f64_e32 v[16:17], v[24:25], v[18:19]
	s_delay_alu instid0(VALU_DEP_1) | instskip(SKIP_1) | instid1(VALU_DEP_2)
	v_add_f64_e32 v[14:15], v[14:15], v[16:17]
	v_mul_f64_e32 v[16:17], 0xbac9cc01f97b57a0, v[20:21]
	v_add_f64_e32 v[18:19], v[26:27], v[14:15]
	s_delay_alu instid0(VALU_DEP_1) | instskip(SKIP_1) | instid1(VALU_DEP_2)
	v_add_f64_e32 v[24:25], v[18:19], v[16:17]
	v_add_f64_e64 v[26:27], v[26:27], -v[18:19]
	v_add_f64_e64 v[18:19], v[18:19], -v[24:25]
	s_delay_alu instid0(VALU_DEP_2) | instskip(NEXT) | instid1(VALU_DEP_2)
	v_add_f64_e32 v[14:15], v[14:15], v[26:27]
	v_add_f64_e32 v[16:17], v[18:19], v[16:17]
	s_delay_alu instid0(VALU_DEP_1) | instskip(NEXT) | instid1(VALU_DEP_1)
	v_add_f64_e32 v[14:15], v[14:15], v[16:17]
	v_add_f64_e32 v[16:17], v[24:25], v[14:15]
	s_delay_alu instid0(VALU_DEP_1) | instskip(SKIP_1) | instid1(VALU_DEP_2)
	v_add_f64_e64 v[18:19], v[24:25], -v[16:17]
	v_mul_f64_e32 v[24:25], v[16:17], v[16:17]
	v_add_f64_e32 v[14:15], v[14:15], v[18:19]
	s_delay_alu instid0(VALU_DEP_2) | instskip(NEXT) | instid1(VALU_DEP_2)
	v_fma_f64 v[18:19], v[16:17], v[16:17], -v[24:25]
	v_add_f64_e32 v[26:27], v[14:15], v[14:15]
	s_delay_alu instid0(VALU_DEP_1) | instskip(SKIP_2) | instid1(SALU_CYCLE_1)
	v_fmac_f64_e32 v[18:19], v[16:17], v[26:27]
	v_fmaak_f64 v[26:27], s[0:1], v[16:17], 0x3e928af3fca7ab0c
	s_mov_b64 s[0:1], 0x408633ce8fb9f87e
	v_cmp_ge_f64_e64 s3, |v[2:3]|, s[0:1]
	v_cmp_gt_f64_e64 s0, 0x3e400000, |v[2:3]|
	v_cmp_class_f64_e64 s1, v[0:1], 0x1f8
	s_delay_alu instid0(VALU_DEP_4) | instskip(NEXT) | instid1(VALU_DEP_1)
	v_fmaak_f64 v[26:27], v[16:17], v[26:27], 0x3ec71dee623fde64
	v_fmaak_f64 v[26:27], v[16:17], v[26:27], 0x3efa01997c89e6b0
	s_delay_alu instid0(VALU_DEP_1) | instskip(NEXT) | instid1(VALU_DEP_1)
	v_fmaak_f64 v[26:27], v[16:17], v[26:27], 0x3f2a01a014761f6e
	v_fmaak_f64 v[26:27], v[16:17], v[26:27], 0x3f56c16c1852b7b0
	v_add_f64_e32 v[28:29], v[24:25], v[18:19]
	s_delay_alu instid0(VALU_DEP_2) | instskip(NEXT) | instid1(VALU_DEP_1)
	v_fmaak_f64 v[26:27], v[16:17], v[26:27], 0x3f81111111122322
	v_fmaak_f64 v[26:27], v[16:17], v[26:27], 0x3fa55555555502a1
	s_delay_alu instid0(VALU_DEP_1) | instskip(NEXT) | instid1(VALU_DEP_1)
	v_fmaak_f64 v[26:27], v[16:17], v[26:27], 0x3fc5555555555511
	v_fmaak_f64 v[26:27], v[16:17], v[26:27], 0x3fe000000000000b
	v_add_f64_e64 v[24:25], v[28:29], -v[24:25]
	s_delay_alu instid0(VALU_DEP_2) | instskip(NEXT) | instid1(VALU_DEP_2)
	v_mul_f64_e32 v[30:31], v[28:29], v[26:27]
	v_add_f64_e64 v[18:19], v[18:19], -v[24:25]
	s_delay_alu instid0(VALU_DEP_2) | instskip(NEXT) | instid1(VALU_DEP_1)
	v_fma_f64 v[24:25], v[28:29], v[26:27], -v[30:31]
	v_fmac_f64_e32 v[24:25], v[18:19], v[26:27]
	s_delay_alu instid0(VALU_DEP_1) | instskip(NEXT) | instid1(VALU_DEP_1)
	v_add_f64_e32 v[18:19], v[30:31], v[24:25]
	v_add_f64_e64 v[26:27], v[18:19], -v[30:31]
	v_add_f64_e32 v[28:29], v[16:17], v[18:19]
	s_delay_alu instid0(VALU_DEP_2) | instskip(NEXT) | instid1(VALU_DEP_2)
	v_add_f64_e64 v[24:25], v[24:25], -v[26:27]
	v_add_f64_e64 v[16:17], v[28:29], -v[16:17]
	s_delay_alu instid0(VALU_DEP_2) | instskip(NEXT) | instid1(VALU_DEP_2)
	v_add_f64_e32 v[14:15], v[14:15], v[24:25]
	v_add_f64_e64 v[16:17], v[18:19], -v[16:17]
	s_delay_alu instid0(VALU_DEP_1) | instskip(NEXT) | instid1(VALU_DEP_1)
	v_add_f64_e32 v[14:15], v[14:15], v[16:17]
	v_add_f64_e32 v[16:17], v[28:29], v[14:15]
	s_delay_alu instid0(VALU_DEP_1) | instskip(SKIP_2) | instid1(VALU_DEP_3)
	v_add_f64_e32 v[18:19], 1.0, v[16:17]
	v_add_f64_e64 v[24:25], v[16:17], -v[28:29]
	v_cvt_i32_f64_e32 v28, v[20:21]
	v_add_f64_e32 v[26:27], -1.0, v[18:19]
	s_delay_alu instid0(VALU_DEP_3) | instskip(NEXT) | instid1(VALU_DEP_2)
	v_add_f64_e64 v[14:15], v[14:15], -v[24:25]
	v_add_f64_e64 v[16:17], v[16:17], -v[26:27]
	s_delay_alu instid0(VALU_DEP_1) | instskip(NEXT) | instid1(VALU_DEP_1)
	v_add_f64_e32 v[16:17], v[14:15], v[16:17]
	v_add_f64_e32 v[20:21], v[18:19], v[16:17]
	s_delay_alu instid0(VALU_DEP_1) | instskip(SKIP_1) | instid1(VALU_DEP_2)
	v_ldexp_f64 v[14:15], v[20:21], v28
	v_add_f64_e64 v[18:19], v[20:21], -v[18:19]
	v_rcp_f64_e32 v[24:25], v[14:15]
	s_delay_alu instid0(VALU_DEP_1) | instskip(NEXT) | instid1(VALU_DEP_1)
	v_add_f64_e64 v[16:17], v[16:17], -v[18:19]
	v_ldexp_f64 v[16:17], v[16:17], v28
	s_delay_alu instid0(TRANS32_DEP_1) | instskip(NEXT) | instid1(VALU_DEP_1)
	v_fma_f64 v[26:27], -v[14:15], v[24:25], 1.0
	v_fmac_f64_e32 v[24:25], v[26:27], v[24:25]
	s_delay_alu instid0(VALU_DEP_1) | instskip(NEXT) | instid1(VALU_DEP_1)
	v_fma_f64 v[26:27], -v[14:15], v[24:25], 1.0
	v_fmac_f64_e32 v[24:25], v[26:27], v[24:25]
	s_delay_alu instid0(VALU_DEP_1) | instskip(NEXT) | instid1(VALU_DEP_1)
	v_mul_f64_e32 v[18:19], v[14:15], v[24:25]
	v_fma_f64 v[20:21], v[24:25], v[14:15], -v[18:19]
	s_delay_alu instid0(VALU_DEP_1) | instskip(NEXT) | instid1(VALU_DEP_1)
	v_fmac_f64_e32 v[20:21], v[24:25], v[16:17]
	v_add_f64_e32 v[26:27], v[18:19], v[20:21]
	s_delay_alu instid0(VALU_DEP_1) | instskip(SKIP_1) | instid1(VALU_DEP_2)
	v_add_f64_e64 v[28:29], -v[26:27], 1.0
	v_add_f64_e64 v[18:19], v[26:27], -v[18:19]
	v_add_f64_e64 v[30:31], -v[28:29], 1.0
	s_delay_alu instid0(VALU_DEP_2) | instskip(NEXT) | instid1(VALU_DEP_2)
	v_add_f64_e64 v[18:19], v[18:19], -v[20:21]
	v_add_f64_e64 v[20:21], v[30:31], -v[26:27]
	s_delay_alu instid0(VALU_DEP_1) | instskip(NEXT) | instid1(VALU_DEP_1)
	v_add_f64_e32 v[18:19], v[18:19], v[20:21]
	v_add_f64_e32 v[20:21], v[28:29], v[18:19]
	s_delay_alu instid0(VALU_DEP_1) | instskip(SKIP_1) | instid1(VALU_DEP_2)
	v_mul_f64_e32 v[26:27], v[24:25], v[20:21]
	v_add_f64_e64 v[28:29], v[28:29], -v[20:21]
	v_mul_f64_e32 v[30:31], v[14:15], v[26:27]
	s_delay_alu instid0(VALU_DEP_2) | instskip(NEXT) | instid1(VALU_DEP_2)
	v_add_f64_e32 v[18:19], v[18:19], v[28:29]
	v_fma_f64 v[32:33], v[26:27], v[14:15], -v[30:31]
	s_delay_alu instid0(VALU_DEP_1) | instskip(NEXT) | instid1(VALU_DEP_1)
	v_fmac_f64_e32 v[32:33], v[26:27], v[16:17]
	v_add_f64_e32 v[34:35], v[30:31], v[32:33]
	s_delay_alu instid0(VALU_DEP_1) | instskip(SKIP_2) | instid1(VALU_DEP_3)
	v_add_f64_e64 v[36:37], v[20:21], -v[34:35]
	v_add_f64_e64 v[28:29], v[34:35], -v[30:31]
	v_mov_b64_e32 v[30:31], 0xbe5ae600b42fdfa7
	v_add_f64_e64 v[20:21], v[20:21], -v[36:37]
	s_delay_alu instid0(VALU_DEP_3) | instskip(NEXT) | instid1(VALU_DEP_2)
	v_add_f64_e64 v[28:29], v[28:29], -v[32:33]
	v_add_f64_e64 v[20:21], v[20:21], -v[34:35]
	s_delay_alu instid0(VALU_DEP_1) | instskip(SKIP_1) | instid1(VALU_DEP_2)
	v_add_f64_e32 v[18:19], v[18:19], v[20:21]
	v_add_f64_e32 v[20:21], v[24:25], v[26:27]
	v_add_f64_e32 v[18:19], v[28:29], v[18:19]
	s_delay_alu instid0(VALU_DEP_2) | instskip(NEXT) | instid1(VALU_DEP_2)
	v_add_f64_e64 v[28:29], v[20:21], -v[24:25]
	v_add_f64_e32 v[18:19], v[36:37], v[18:19]
	s_delay_alu instid0(VALU_DEP_2) | instskip(NEXT) | instid1(VALU_DEP_2)
	v_add_f64_e64 v[26:27], v[26:27], -v[28:29]
	v_mul_f64_e32 v[18:19], v[24:25], v[18:19]
	v_mul_f64_e32 v[24:25], v[4:5], v[4:5]
	s_delay_alu instid0(VALU_DEP_2) | instskip(SKIP_1) | instid1(VALU_DEP_3)
	v_add_f64_e32 v[18:19], v[26:27], v[18:19]
	v_mul_f64_e32 v[26:27], v[8:9], v[8:9]
	v_fmamk_f64 v[32:33], v[24:25], 0x3de5e0b2f9a43bb8, v[30:31]
	v_mul_f64_e32 v[34:35], 0.5, v[24:25]
	v_mul_f64_e64 v[50:51], v[4:5], -v[24:25]
	s_delay_alu instid0(VALU_DEP_3) | instskip(NEXT) | instid1(VALU_DEP_1)
	v_fmaak_f64 v[32:33], v[24:25], v[32:33], 0x3ec71de3796cde01
	v_fmaak_f64 v[32:33], v[24:25], v[32:33], 0xbf2a01a019e83e5c
	s_delay_alu instid0(VALU_DEP_1) | instskip(SKIP_4) | instid1(VALU_DEP_4)
	v_fmaak_f64 v[32:33], v[24:25], v[32:33], 0x3f81111111110bb3
	v_add_f64_e32 v[28:29], v[20:21], v[18:19]
	v_fmac_f64_e32 v[30:31], 0x3de5e0b2f9a43bb8, v[26:27]
	v_mul_f64_e32 v[42:43], 0.5, v[26:27]
	v_add_f64_e64 v[44:45], -v[34:35], 1.0
	v_ldexp_f64 v[36:37], v[28:29], -2
	s_delay_alu instid0(VALU_DEP_4) | instskip(SKIP_4) | instid1(VALU_DEP_4)
	v_fmac_f64_e32 v[38:39], v[26:27], v[30:31]
	v_fmamk_f64 v[30:31], v[24:25], 0xbda907db46cc5e42, v[40:41]
	v_fmac_f64_e32 v[40:41], 0xbda907db46cc5e42, v[26:27]
	v_add_f64_e64 v[20:21], v[28:29], -v[20:21]
	v_add_f64_e64 v[52:53], -v[44:45], 1.0
	v_fmaak_f64 v[30:31], v[24:25], v[30:31], 0xbe927e4fa17f65f6
	s_delay_alu instid0(VALU_DEP_1) | instskip(NEXT) | instid1(VALU_DEP_1)
	v_fmaak_f64 v[30:31], v[24:25], v[30:31], 0x3efa01a019f4ec90
	v_fmaak_f64 v[30:31], v[24:25], v[30:31], 0xbf56c16c16c16967
	v_add_f64_e64 v[28:29], v[14:15], -v[36:37]
	v_fmac_f64_e32 v[46:47], v[26:27], v[38:39]
	v_add_f64_e64 v[38:39], -v[42:43], 1.0
	v_fmac_f64_e32 v[48:49], v[26:27], v[40:41]
	v_mul_f64_e32 v[40:41], 0.5, v[6:7]
	v_add_f64_e64 v[18:19], v[18:19], -v[20:21]
	v_add_f64_e32 v[20:21], v[14:15], v[36:37]
	v_add_f64_e64 v[54:55], v[14:15], -v[28:29]
	v_fmac_f64_e32 v[56:57], v[26:27], v[46:47]
	v_mul_f64_e64 v[46:47], v[8:9], -v[26:27]
	v_fmac_f64_e32 v[58:59], v[26:27], v[48:49]
	v_add_f64_e64 v[48:49], -v[38:39], 1.0
	v_fmac_f64_e32 v[40:41], v[50:51], v[32:33]
	v_add_f64_e64 v[32:33], v[52:53], -v[34:35]
	v_ldexp_f64 v[18:19], v[18:19], -2
	v_mov_b64_e32 v[52:53], 0xbf56c16c16c16967
	v_add_f64_e64 v[14:15], v[20:21], -v[14:15]
	v_add_f64_e64 v[34:35], v[54:55], -v[36:37]
	v_mul_f64_e32 v[54:55], v[26:27], v[26:27]
	v_fmac_f64_e32 v[60:61], v[46:47], v[56:57]
	v_fmac_f64_e32 v[52:53], v[26:27], v[58:59]
	v_add_f64_e64 v[42:43], v[48:49], -v[42:43]
	v_mul_f64_e32 v[48:49], v[24:25], v[24:25]
	v_fma_f64 v[40:41], v[24:25], v[40:41], -v[6:7]
	v_fma_f64 v[6:7], v[4:5], -v[6:7], v[32:33]
	v_add_f64_e32 v[32:33], v[16:17], v[18:19]
	v_add_f64_e64 v[14:15], v[36:37], -v[14:15]
	v_fmaak_f64 v[24:25], v[24:25], v[30:31], 0x3fa5555555555555
	v_add_f64_e32 v[16:17], v[16:17], v[34:35]
	v_mov_b64_e32 v[34:35], 0x3fa5555555555555
	v_fma_f64 v[36:37], v[26:27], v[60:61], -v[10:11]
	v_fma_f64 v[10:11], v[8:9], -v[10:11], v[42:43]
	v_fmac_f64_e32 v[40:41], 0xbfc5555555555555, v[50:51]
	v_fmac_f64_e32 v[6:7], v[48:49], v[24:25]
	;; [unrolled: 1-line block ×3, first 2 shown]
	v_add_f64_e32 v[14:15], v[32:33], v[14:15]
	v_add_f64_e64 v[16:17], v[16:17], -v[18:19]
	v_and_b32_e32 v18, 1, v22
	v_fmac_f64_e32 v[36:37], 0xbfc5555555555555, v[46:47]
	v_add_f64_e64 v[4:5], v[4:5], -v[40:41]
	v_add_f64_e32 v[6:7], v[44:45], v[6:7]
	v_fmac_f64_e32 v[10:11], v[54:55], v[34:35]
	v_add_f64_e32 v[14:15], v[20:21], v[14:15]
	v_cmp_eq_u32_e32 vcc_lo, 0, v18
	v_dual_add_f64 v[16:17], v[28:29], v[16:17] :: v_dual_lshlrev_b32 v18, 30, v22
	v_add_f64_e64 v[8:9], v[8:9], -v[36:37]
	v_cndmask_b32_e32 v4, v6, v4, vcc_lo
	v_add_f64_e32 v[10:11], v[38:39], v[10:11]
	v_cndmask_b32_e32 v5, v7, v5, vcc_lo
	v_xor_b32_e32 v7, v18, v1
	v_cndmask_b32_e64 v15, v15, 0x7ff00000, s3
	v_cndmask_b32_e64 v4, 0, v4, s1
	;; [unrolled: 1-line block ×3, first 2 shown]
	s_delay_alu instid0(VALU_DEP_4) | instskip(NEXT) | instid1(VALU_DEP_1)
	v_bitop3_b32 v5, v5, v7, 0x80000000 bitop3:0x78
	v_cndmask_b32_e64 v5, 0x7ff80000, v5, s1
	s_delay_alu instid0(VALU_DEP_1) | instskip(SKIP_3) | instid1(VALU_DEP_3)
	v_mul_f64_e32 v[4:5], v[14:15], v[4:5]
	v_cndmask_b32_e64 v6, v16, 0, s3
	v_and_b32_e32 v16, 1, v23
	v_xor_b32_e32 v9, 0x80000000, v9
	v_cndmask_b32_e64 v6, v6, v2, s0
	s_delay_alu instid0(VALU_DEP_3) | instskip(SKIP_1) | instid1(VALU_DEP_2)
	v_cmp_eq_u32_e64 s2, 0, v16
	v_cndmask_b32_e64 v16, v17, 0x7ff00000, s3
	v_dual_cndmask_b32 v8, v8, v10, s2 :: v_dual_cndmask_b32 v9, v9, v11, s2
	v_lshlrev_b32_e32 v10, 30, v23
	v_and_b32_e32 v11, 0x7fffffff, v3
	s_delay_alu instid0(VALU_DEP_3) | instskip(NEXT) | instid1(VALU_DEP_3)
	v_cndmask_b32_e64 v8, 0, v8, s1
	v_bitop3_b32 v7, v9, v10, 0x80000000 bitop3:0x78
	s_delay_alu instid0(VALU_DEP_3) | instskip(NEXT) | instid1(VALU_DEP_2)
	v_cndmask_b32_e64 v10, v16, v11, s0
	v_cndmask_b32_e64 v9, 0x7ff80000, v7, s1
	s_delay_alu instid0(VALU_DEP_2) | instskip(NEXT) | instid1(VALU_DEP_1)
	v_bfi_b32 v7, 0x7fffffff, v10, v3
	v_mul_f64_e32 v[6:7], v[6:7], v[8:9]
.LBB1_27:
	s_cbranch_execnz .LBB1_8
.LBB1_28:
	s_wait_loadcnt 0x0
	v_cmp_lt_f64_e64 s0, |v[0:1]|, |v[2:3]|
	s_cmp_gt_i32 s10, 4
	s_cbranch_scc0 .LBB1_30
; %bb.29:
	v_max_num_f64_e64 v[4:5], |v[2:3]|, |v[2:3]|
	v_max_num_f64_e64 v[6:7], |v[0:1]|, |v[0:1]|
	s_mov_b64 s[2:3], 0x3eeba404b5e68a13
	s_delay_alu instid0(VALU_DEP_1) | instskip(SKIP_1) | instid1(VALU_DEP_1)
	v_max_num_f64_e32 v[8:9], v[6:7], v[4:5]
	v_min_num_f64_e32 v[4:5], v[6:7], v[4:5]
	v_div_scale_f64 v[6:7], null, v[8:9], v[8:9], v[4:5]
	v_div_scale_f64 v[16:17], vcc_lo, v[4:5], v[8:9], v[4:5]
	s_delay_alu instid0(VALU_DEP_2) | instskip(SKIP_1) | instid1(TRANS32_DEP_1)
	v_rcp_f64_e32 v[10:11], v[6:7]
	v_nop
	v_fma_f64 v[14:15], -v[6:7], v[10:11], 1.0
	s_delay_alu instid0(VALU_DEP_1) | instskip(NEXT) | instid1(VALU_DEP_1)
	v_fmac_f64_e32 v[10:11], v[10:11], v[14:15]
	v_fma_f64 v[14:15], -v[6:7], v[10:11], 1.0
	s_delay_alu instid0(VALU_DEP_1) | instskip(NEXT) | instid1(VALU_DEP_1)
	v_fmac_f64_e32 v[10:11], v[10:11], v[14:15]
	v_mul_f64_e32 v[14:15], v[16:17], v[10:11]
	s_delay_alu instid0(VALU_DEP_1) | instskip(NEXT) | instid1(VALU_DEP_1)
	v_fma_f64 v[6:7], -v[6:7], v[14:15], v[16:17]
	v_div_fmas_f64 v[6:7], v[6:7], v[10:11], v[14:15]
	v_cmp_gt_i32_e32 vcc_lo, 0, v1
	s_delay_alu instid0(VALU_DEP_2) | instskip(NEXT) | instid1(VALU_DEP_1)
	v_div_fixup_f64 v[4:5], v[6:7], v[8:9], v[4:5]
	v_mul_f64_e32 v[6:7], v[4:5], v[4:5]
	s_delay_alu instid0(VALU_DEP_1) | instskip(SKIP_1) | instid1(VALU_DEP_1)
	v_fmaak_f64 v[8:9], s[2:3], v[6:7], 0xbf23e260bd3237f4
	s_mov_b64 s[2:3], 0x3ff921fb54442d18
	v_fmaak_f64 v[8:9], v[6:7], v[8:9], 0x3f4b2bb069efb384
	s_delay_alu instid0(VALU_DEP_1) | instskip(NEXT) | instid1(VALU_DEP_1)
	v_fmaak_f64 v[8:9], v[6:7], v[8:9], 0xbf67952daf56de9b
	v_fmaak_f64 v[8:9], v[6:7], v[8:9], 0x3f7d6d43a595c56f
	s_delay_alu instid0(VALU_DEP_1) | instskip(NEXT) | instid1(VALU_DEP_1)
	v_fmaak_f64 v[8:9], v[6:7], v[8:9], 0xbf8c6ea4a57d9582
	;; [unrolled: 3-line block ×9, first 2 shown]
	v_mul_f64_e32 v[6:7], v[6:7], v[8:9]
	v_ashrrev_i32_e32 v9, 31, v1
	s_delay_alu instid0(VALU_DEP_1) | instskip(SKIP_1) | instid1(VALU_DEP_4)
	v_and_b32_e32 v10, 0x54442d18, v9
	v_and_b32_e32 v9, 0x400921fb, v9
	v_fmac_f64_e32 v[4:5], v[4:5], v[6:7]
	s_delay_alu instid0(VALU_DEP_1) | instskip(SKIP_1) | instid1(VALU_DEP_2)
	v_add_f64_e64 v[6:7], -v[4:5], s[2:3]
	v_cmp_class_f64_e64 s2, v[0:1], 0x204
	v_dual_cndmask_b32 v5, v5, v7, s0 :: v_dual_cndmask_b32 v4, v4, v6, s0
	s_mov_b64 s[0:1], 0x400921fb54442d18
	s_delay_alu instid0(VALU_DEP_1) | instid1(SALU_CYCLE_1)
	v_add_f64_e64 v[6:7], -v[4:5], s[0:1]
	v_cmp_eq_f64_e64 s0, 0, v[2:3]
	v_cmp_class_f64_e64 s1, v[2:3], 0x204
	s_delay_alu instid0(VALU_DEP_3) | instskip(SKIP_1) | instid1(VALU_DEP_2)
	v_dual_cndmask_b32 v5, v5, v7 :: v_dual_cndmask_b32 v4, v4, v6
	v_mov_b32_e32 v6, 0x4002d97c
	v_dual_cndmask_b32 v5, v5, v9, s0 :: v_dual_cndmask_b32 v4, v4, v10, s0
	s_delay_alu instid0(VALU_DEP_2) | instskip(SKIP_1) | instid1(VALU_DEP_1)
	v_cndmask_b32_e32 v6, 0x3fe921fb, v6, vcc_lo
	v_mov_b32_e32 v8, 0x7f3321d2
	v_cndmask_b32_e32 v8, 0x54442d18, v8, vcc_lo
	s_and_b32 vcc_lo, s2, s1
	s_delay_alu instid0(VALU_DEP_1) | instskip(SKIP_1) | instid1(VALU_DEP_2)
	v_dual_cndmask_b32 v5, v5, v6 :: v_dual_cndmask_b32 v4, v4, v8
	v_cmp_o_f64_e32 vcc_lo, v[0:1], v[2:3]
	v_cndmask_b32_e32 v5, 0x7ff80000, v5, vcc_lo
	s_delay_alu instid0(VALU_DEP_3) | instskip(NEXT) | instid1(VALU_DEP_2)
	v_cndmask_b32_e32 v4, 0, v4, vcc_lo
	v_bfi_b32 v5, 0x7fffffff, v5, v3
	s_cbranch_execz .LBB1_31
	s_branch .LBB1_34
.LBB1_30:
                                        ; implicit-def: $vgpr4_vgpr5
.LBB1_31:
	v_cmp_lt_f64_e64 vcc_lo, |v[0:1]|, |v[2:3]|
	v_and_b32_e32 v4, 0x7fffffff, v1
	v_and_b32_e32 v5, 0x7fffffff, v3
	s_mov_b32 s1, exec_lo
	s_delay_alu instid0(VALU_DEP_1) | instskip(SKIP_1) | instid1(VALU_DEP_1)
	v_cndmask_b32_e32 v5, v4, v5, vcc_lo
	v_cndmask_b32_e32 v4, v0, v2, vcc_lo
	v_cmpx_neq_f64_e32 0, v[4:5]
	s_cbranch_execz .LBB1_33
; %bb.32:
	v_div_scale_f64 v[6:7], null, v[4:5], v[4:5], v[0:1]
	v_div_scale_f64 v[8:9], null, v[4:5], v[4:5], v[2:3]
	v_div_scale_f64 v[20:21], vcc_lo, v[0:1], v[4:5], v[0:1]
	s_delay_alu instid0(VALU_DEP_3) | instskip(NEXT) | instid1(VALU_DEP_2)
	v_rcp_f64_e32 v[10:11], v[6:7]
	v_rcp_f64_e32 v[14:15], v[8:9]
	s_delay_alu instid0(TRANS32_DEP_2) | instskip(NEXT) | instid1(TRANS32_DEP_1)
	v_fma_f64 v[16:17], -v[6:7], v[10:11], 1.0
	v_fma_f64 v[18:19], -v[8:9], v[14:15], 1.0
	s_delay_alu instid0(VALU_DEP_2) | instskip(NEXT) | instid1(VALU_DEP_2)
	v_fmac_f64_e32 v[10:11], v[10:11], v[16:17]
	v_fmac_f64_e32 v[14:15], v[14:15], v[18:19]
	s_delay_alu instid0(VALU_DEP_2) | instskip(NEXT) | instid1(VALU_DEP_2)
	v_fma_f64 v[16:17], -v[6:7], v[10:11], 1.0
	v_fma_f64 v[18:19], -v[8:9], v[14:15], 1.0
	s_delay_alu instid0(VALU_DEP_2) | instskip(SKIP_1) | instid1(VALU_DEP_3)
	v_fmac_f64_e32 v[10:11], v[10:11], v[16:17]
	v_div_scale_f64 v[16:17], s0, v[2:3], v[4:5], v[2:3]
	v_fmac_f64_e32 v[14:15], v[14:15], v[18:19]
	s_delay_alu instid0(VALU_DEP_3) | instskip(NEXT) | instid1(VALU_DEP_2)
	v_mul_f64_e32 v[18:19], v[20:21], v[10:11]
	v_mul_f64_e32 v[22:23], v[16:17], v[14:15]
	s_delay_alu instid0(VALU_DEP_2) | instskip(NEXT) | instid1(VALU_DEP_2)
	v_fma_f64 v[6:7], -v[6:7], v[18:19], v[20:21]
	v_fma_f64 v[8:9], -v[8:9], v[22:23], v[16:17]
	s_delay_alu instid0(VALU_DEP_2) | instskip(SKIP_1) | instid1(VALU_DEP_2)
	v_div_fmas_f64 v[6:7], v[6:7], v[10:11], v[18:19]
	s_mov_b32 vcc_lo, s0
	v_div_fmas_f64 v[8:9], v[8:9], v[14:15], v[22:23]
	s_delay_alu instid0(VALU_DEP_2) | instskip(NEXT) | instid1(VALU_DEP_2)
	v_div_fixup_f64 v[6:7], v[6:7], v[4:5], v[0:1]
	v_div_fixup_f64 v[8:9], v[8:9], v[4:5], v[2:3]
	s_delay_alu instid0(VALU_DEP_1) | instskip(NEXT) | instid1(VALU_DEP_1)
	v_mul_f64_e32 v[8:9], v[8:9], v[8:9]
	v_fmac_f64_e32 v[8:9], v[6:7], v[6:7]
	s_delay_alu instid0(VALU_DEP_1) | instskip(SKIP_1) | instid1(VALU_DEP_1)
	v_cmp_gt_f64_e32 vcc_lo, 0x10000000, v[8:9]
	v_cndmask_b32_e64 v6, 0, 0x100, vcc_lo
	v_ldexp_f64 v[6:7], v[8:9], v6
	s_delay_alu instid0(VALU_DEP_1) | instskip(SKIP_1) | instid1(TRANS32_DEP_1)
	v_rsq_f64_e32 v[8:9], v[6:7]
	v_nop
	v_mul_f64_e32 v[10:11], v[6:7], v[8:9]
	v_mul_f64_e32 v[8:9], 0.5, v[8:9]
	s_delay_alu instid0(VALU_DEP_1) | instskip(NEXT) | instid1(VALU_DEP_1)
	v_fma_f64 v[14:15], -v[8:9], v[10:11], 0.5
	v_fmac_f64_e32 v[10:11], v[10:11], v[14:15]
	v_fmac_f64_e32 v[8:9], v[8:9], v[14:15]
	s_delay_alu instid0(VALU_DEP_2) | instskip(NEXT) | instid1(VALU_DEP_1)
	v_fma_f64 v[14:15], -v[10:11], v[10:11], v[6:7]
	v_fmac_f64_e32 v[10:11], v[14:15], v[8:9]
	s_delay_alu instid0(VALU_DEP_1) | instskip(NEXT) | instid1(VALU_DEP_1)
	v_fma_f64 v[14:15], -v[10:11], v[10:11], v[6:7]
	v_fmac_f64_e32 v[10:11], v[14:15], v[8:9]
	v_cndmask_b32_e64 v8, 0, 0xffffff80, vcc_lo
	v_cmp_class_f64_e64 vcc_lo, v[6:7], 0x260
	s_delay_alu instid0(VALU_DEP_2) | instskip(NEXT) | instid1(VALU_DEP_1)
	v_ldexp_f64 v[8:9], v[10:11], v8
	v_dual_cndmask_b32 v7, v9, v7 :: v_dual_cndmask_b32 v6, v8, v6
	s_delay_alu instid0(VALU_DEP_1)
	v_mul_f64_e32 v[4:5], v[4:5], v[6:7]
.LBB1_33:
	s_or_b32 exec_lo, exec_lo, s1
.LBB1_34:
	v_mov_b64_e32 v[6:7], 0
	s_cbranch_execnz .LBB1_59
.LBB1_35:
	v_lshl_add_u64 v[4:5], v[12:13], 4, s[6:7]
	s_cmp_lt_i32 s10, 2
	global_load_b128 v[8:11], v[4:5], off
	s_cbranch_scc1 .LBB1_53
; %bb.36:
	s_cmp_gt_i32 s10, 2
	s_cbranch_scc0 .LBB1_54
; %bb.37:
	s_wait_loadcnt 0x0
	v_max_num_f64_e64 v[4:5], |v[10:11]|, |v[10:11]|
	v_max_num_f64_e64 v[6:7], |v[8:9]|, |v[8:9]|
	s_delay_alu instid0(VALU_DEP_1) | instskip(NEXT) | instid1(VALU_DEP_1)
	v_max_num_f64_e32 v[4:5], v[6:7], v[4:5]
	v_frexp_exp_i32_f64_e32 v6, v[4:5]
	s_delay_alu instid0(VALU_DEP_1) | instskip(SKIP_1) | instid1(VALU_DEP_2)
	v_add_nc_u32_e32 v6, -1, v6
	v_cmp_lg_f64_e32 vcc_lo, 0x7ff00000, v[4:5]
	v_cvt_f64_i32_e32 v[6:7], v6
	s_delay_alu instid0(VALU_DEP_1) | instskip(SKIP_1) | instid1(VALU_DEP_2)
	v_dual_cndmask_b32 v6, v4, v6 :: v_dual_cndmask_b32 v7, v5, v7
	v_cmp_neq_f64_e32 vcc_lo, 0, v[4:5]
	v_cndmask_b32_e32 v19, 0xfff00000, v7, vcc_lo
	s_delay_alu instid0(VALU_DEP_3) | instskip(NEXT) | instid1(VALU_DEP_1)
	v_cndmask_b32_e32 v18, 0, v6, vcc_lo
	v_cvt_i32_f64_e32 v38, v[18:19]
	s_delay_alu instid0(VALU_DEP_1) | instskip(SKIP_1) | instid1(VALU_DEP_2)
	v_sub_nc_u32_e32 v6, 0, v38
	v_cmp_class_f64_e64 s0, v[18:19], 0x1f8
	v_ldexp_f64 v[4:5], v[8:9], v6
	v_ldexp_f64 v[6:7], v[10:11], v6
	s_delay_alu instid0(VALU_DEP_1) | instskip(NEXT) | instid1(VALU_DEP_2)
	v_dual_cndmask_b32 v15, v9, v5, s0 :: v_dual_cndmask_b32 v17, v11, v7, s0
	v_dual_cndmask_b32 v16, v10, v6, s0 :: v_dual_cndmask_b32 v14, v8, v4, s0
	s_delay_alu instid0(VALU_DEP_1) | instskip(SKIP_2) | instid1(VALU_DEP_3)
	v_mul_f64_e32 v[20:21], v[16:17], v[16:17]
	v_mul_f64_e32 v[6:7], v[2:3], v[16:17]
	;; [unrolled: 1-line block ×3, first 2 shown]
	v_fmac_f64_e32 v[20:21], v[14:15], v[14:15]
	s_delay_alu instid0(VALU_DEP_3) | instskip(NEXT) | instid1(VALU_DEP_3)
	v_fmac_f64_e32 v[6:7], v[0:1], v[14:15]
	v_fma_f64 v[4:5], v[2:3], v[14:15], -v[22:23]
	s_delay_alu instid0(VALU_DEP_2) | instskip(NEXT) | instid1(VALU_DEP_2)
	v_div_scale_f64 v[22:23], null, v[20:21], v[20:21], v[6:7]
	v_div_scale_f64 v[24:25], null, v[20:21], v[20:21], v[4:5]
	v_div_scale_f64 v[34:35], vcc_lo, v[6:7], v[20:21], v[6:7]
	s_delay_alu instid0(VALU_DEP_3) | instskip(NEXT) | instid1(VALU_DEP_2)
	v_rcp_f64_e32 v[26:27], v[22:23]
	v_rcp_f64_e32 v[28:29], v[24:25]
	s_delay_alu instid0(TRANS32_DEP_2) | instskip(NEXT) | instid1(TRANS32_DEP_1)
	v_fma_f64 v[30:31], -v[22:23], v[26:27], 1.0
	v_fma_f64 v[32:33], -v[24:25], v[28:29], 1.0
	s_delay_alu instid0(VALU_DEP_2) | instskip(NEXT) | instid1(VALU_DEP_2)
	v_fmac_f64_e32 v[26:27], v[26:27], v[30:31]
	v_fmac_f64_e32 v[28:29], v[28:29], v[32:33]
	s_delay_alu instid0(VALU_DEP_2) | instskip(NEXT) | instid1(VALU_DEP_2)
	v_fma_f64 v[30:31], -v[22:23], v[26:27], 1.0
	v_fma_f64 v[32:33], -v[24:25], v[28:29], 1.0
	s_delay_alu instid0(VALU_DEP_2) | instskip(SKIP_1) | instid1(VALU_DEP_3)
	v_fmac_f64_e32 v[26:27], v[26:27], v[30:31]
	v_div_scale_f64 v[30:31], s1, v[4:5], v[20:21], v[4:5]
	v_fmac_f64_e32 v[28:29], v[28:29], v[32:33]
	s_delay_alu instid0(VALU_DEP_3) | instskip(NEXT) | instid1(VALU_DEP_2)
	v_mul_f64_e32 v[32:33], v[34:35], v[26:27]
	v_mul_f64_e32 v[36:37], v[30:31], v[28:29]
	s_delay_alu instid0(VALU_DEP_2) | instskip(NEXT) | instid1(VALU_DEP_2)
	v_fma_f64 v[22:23], -v[22:23], v[32:33], v[34:35]
	v_fma_f64 v[24:25], -v[24:25], v[36:37], v[30:31]
	s_delay_alu instid0(VALU_DEP_2) | instskip(SKIP_2) | instid1(VALU_DEP_2)
	v_div_fmas_f64 v[22:23], v[22:23], v[26:27], v[32:33]
	s_mov_b32 vcc_lo, s1
	s_mov_b32 s1, 0
	v_div_fmas_f64 v[24:25], v[24:25], v[28:29], v[36:37]
	s_delay_alu instid0(VALU_DEP_2) | instskip(NEXT) | instid1(VALU_DEP_2)
	v_div_fixup_f64 v[6:7], v[22:23], v[20:21], v[6:7]
	v_div_fixup_f64 v[22:23], v[24:25], v[20:21], v[4:5]
	v_cndmask_b32_e64 v4, 0, v38, s0
	s_delay_alu instid0(VALU_DEP_1) | instskip(NEXT) | instid1(VALU_DEP_1)
	v_sub_nc_u32_e32 v24, 0, v4
	v_ldexp_f64 v[4:5], v[6:7], v24
	s_delay_alu instid0(VALU_DEP_4) | instskip(NEXT) | instid1(VALU_DEP_2)
	v_ldexp_f64 v[6:7], v[22:23], v24
	v_cmp_u_f64_e32 vcc_lo, v[4:5], v[4:5]
	s_delay_alu instid0(VALU_DEP_2) | instskip(SKIP_1) | instid1(SALU_CYCLE_1)
	v_cmp_u_f64_e64 s0, v[6:7], v[6:7]
	s_and_b32 s0, vcc_lo, s0
	s_and_saveexec_b32 s2, s0
	s_cbranch_execz .LBB1_51
; %bb.38:
	v_cmp_neq_f64_e64 s3, 0, v[20:21]
	v_cmp_eq_f64_e32 vcc_lo, 0, v[20:21]
                                        ; implicit-def: $vgpr20_vgpr21
                                        ; implicit-def: $vgpr22_vgpr23
	s_and_saveexec_b32 s4, vcc_lo
	s_cbranch_execz .LBB1_42
; %bb.39:
	v_cmp_o_f64_e32 vcc_lo, v[0:1], v[0:1]
	v_cmp_o_f64_e64 s0, v[2:3], v[2:3]
	s_mov_b32 s5, -1
                                        ; implicit-def: $vgpr20_vgpr21
                                        ; implicit-def: $vgpr22_vgpr23
	s_or_b32 s6, vcc_lo, s0
	s_delay_alu instid0(SALU_CYCLE_1)
	s_and_saveexec_b32 s0, s6
	s_cbranch_execz .LBB1_41
; %bb.40:
	s_mov_b32 s5, 0x7ff00000
	v_mov_b32_e32 v20, 0
	v_bfi_b32 v21, 0x7fffffff, s5, v15
	s_xor_b32 s5, exec_lo, -1
	s_delay_alu instid0(VALU_DEP_1)
	v_mul_f64_e32 v[22:23], v[0:1], v[20:21]
	v_mul_f64_e32 v[20:21], v[2:3], v[20:21]
.LBB1_41:
	s_or_b32 exec_lo, exec_lo, s0
	s_delay_alu instid0(SALU_CYCLE_1) | instskip(SKIP_1) | instid1(SALU_CYCLE_1)
	s_and_not1_b32 s0, s3, exec_lo
	s_and_b32 s3, s5, exec_lo
	s_or_b32 s3, s0, s3
.LBB1_42:
	s_or_b32 exec_lo, exec_lo, s4
	s_and_saveexec_b32 s0, s3
	s_cbranch_execz .LBB1_50
; %bb.43:
	v_cmp_class_f64_e64 s3, v[0:1], 0x204
	v_cmp_class_f64_e64 s4, v[2:3], 0x204
	v_cmp_nlg_f64_e64 s5, 0x7ff00000, |v[14:15]|
	v_cmp_nlg_f64_e64 s6, 0x7ff00000, |v[16:17]|
	s_nor_b32 s7, s3, s4
	s_delay_alu instid0(SALU_CYCLE_1) | instskip(NEXT) | instid1(SALU_CYCLE_1)
	s_or_b32 s5, s7, s5
	s_or_b32 s5, s5, s6
	s_delay_alu instid0(SALU_CYCLE_1) | instskip(NEXT) | instid1(SALU_CYCLE_1)
	s_and_saveexec_b32 s6, s5
	s_xor_b32 s5, exec_lo, s6
	s_cbranch_execz .LBB1_47
; %bb.44:
	v_cmp_class_f64_e64 s6, v[0:1], 0x1f8
	v_cmp_class_f64_e64 s7, v[2:3], 0x1f8
	v_cmp_eq_f64_e32 vcc_lo, 0x7ff00000, v[18:19]
	s_and_b32 s6, s6, s7
	s_delay_alu instid0(SALU_CYCLE_1) | instskip(NEXT) | instid1(SALU_CYCLE_1)
	s_and_b32 s7, s6, vcc_lo
	s_and_saveexec_b32 s6, s7
	s_cbranch_execz .LBB1_46
; %bb.45:
	v_cmp_class_f64_e64 s7, v[16:17], 0x204
	s_delay_alu instid0(VALU_DEP_1) | instskip(SKIP_1) | instid1(VALU_DEP_2)
	v_cndmask_b32_e64 v5, 0, 0x3ff00000, s7
	v_cmp_class_f64_e64 s7, v[14:15], 0x204
	v_bfi_b32 v7, 0x7fffffff, v5, v17
	v_mov_b32_e32 v4, 0
	s_delay_alu instid0(VALU_DEP_1) | instskip(NEXT) | instid1(VALU_DEP_1)
	v_mov_b32_e32 v6, v4
	v_mul_f64_e32 v[16:17], v[2:3], v[6:7]
	v_mul_f64_e32 v[6:7], v[0:1], v[6:7]
	v_cndmask_b32_e64 v5, 0, 0x3ff00000, s7
	s_delay_alu instid0(VALU_DEP_1) | instskip(NEXT) | instid1(VALU_DEP_1)
	v_bfi_b32 v5, 0x7fffffff, v5, v15
	v_fmac_f64_e32 v[16:17], v[0:1], v[4:5]
	s_delay_alu instid0(VALU_DEP_4) | instskip(NEXT) | instid1(VALU_DEP_2)
	v_fma_f64 v[6:7], v[2:3], v[4:5], -v[6:7]
	v_mul_f64_e32 v[4:5], 0, v[16:17]
	s_delay_alu instid0(VALU_DEP_2)
	v_mul_f64_e32 v[6:7], 0, v[6:7]
.LBB1_46:
	s_or_b32 exec_lo, exec_lo, s6
                                        ; implicit-def: $vgpr16_vgpr17
                                        ; implicit-def: $vgpr14_vgpr15
.LBB1_47:
	s_and_not1_saveexec_b32 s5, s5
	s_cbranch_execz .LBB1_49
; %bb.48:
	v_cndmask_b32_e64 v5, 0, 0x3ff00000, s4
	v_cndmask_b32_e64 v18, 0, 0x3ff00000, s3
	s_delay_alu instid0(VALU_DEP_2) | instskip(SKIP_1) | instid1(VALU_DEP_3)
	v_bfi_b32 v7, 0x7fffffff, v5, v3
	v_mov_b32_e32 v4, 0
	v_bfi_b32 v5, 0x7fffffff, v18, v1
	s_delay_alu instid0(VALU_DEP_2) | instskip(NEXT) | instid1(VALU_DEP_1)
	v_mov_b32_e32 v6, v4
	v_mul_f64_e32 v[18:19], v[6:7], v[16:17]
	s_delay_alu instid0(VALU_DEP_3) | instskip(NEXT) | instid1(VALU_DEP_2)
	v_mul_f64_e32 v[16:17], v[4:5], v[16:17]
	v_fmac_f64_e32 v[18:19], v[4:5], v[14:15]
	s_delay_alu instid0(VALU_DEP_2) | instskip(NEXT) | instid1(VALU_DEP_2)
	v_fma_f64 v[6:7], v[6:7], v[14:15], -v[16:17]
	v_mul_f64_e32 v[4:5], 0x7ff00000, v[18:19]
	s_delay_alu instid0(VALU_DEP_2)
	v_mul_f64_e32 v[6:7], 0x7ff00000, v[6:7]
.LBB1_49:
	s_or_b32 exec_lo, exec_lo, s5
	s_delay_alu instid0(VALU_DEP_1) | instskip(NEXT) | instid1(VALU_DEP_3)
	v_mov_b64_e32 v[20:21], v[6:7]
	v_mov_b64_e32 v[22:23], v[4:5]
.LBB1_50:
	s_or_b32 exec_lo, exec_lo, s0
	s_delay_alu instid0(VALU_DEP_1) | instskip(NEXT) | instid1(VALU_DEP_2)
	v_mov_b64_e32 v[6:7], v[20:21]
	v_mov_b64_e32 v[4:5], v[22:23]
.LBB1_51:
	s_or_b32 exec_lo, exec_lo, s2
	s_delay_alu instid0(SALU_CYCLE_1)
	s_and_not1_b32 vcc_lo, exec_lo, s1
	s_cbranch_vccz .LBB1_55
; %bb.52:
	s_cbranch_execnz .LBB1_59
	s_branch .LBB1_57
.LBB1_53:
                                        ; implicit-def: $vgpr6_vgpr7
	s_branch .LBB1_57
.LBB1_54:
                                        ; implicit-def: $vgpr6_vgpr7
.LBB1_55:
	s_wait_loadcnt 0x0
	v_mul_f64_e32 v[24:25], v[2:3], v[10:11]
	v_mul_f64_e32 v[22:23], v[0:1], v[10:11]
	s_mov_b32 s3, exec_lo
	s_delay_alu instid0(VALU_DEP_2) | instskip(NEXT) | instid1(VALU_DEP_2)
	v_fma_f64 v[4:5], v[0:1], v[8:9], -v[24:25]
	v_fma_f64 v[6:7], v[2:3], v[8:9], v[22:23]
	s_delay_alu instid0(VALU_DEP_2)
	v_cmpx_u_f64_e32 v[4:5], v[4:5]
	s_cbranch_execnz .LBB1_64
.LBB1_56:
	s_or_b32 exec_lo, exec_lo, s3
	s_cbranch_execnz .LBB1_59
.LBB1_57:
	s_cmp_gt_i32 s10, 0
	s_mov_b32 s0, 0
	s_cbranch_scc0 .LBB1_60
; %bb.58:
	s_wait_loadcnt 0x0
	v_add_f64_e64 v[4:5], v[0:1], -v[8:9]
	v_add_f64_e64 v[6:7], v[2:3], -v[10:11]
	s_and_not1_b32 vcc_lo, exec_lo, s0
	s_cbranch_vccz .LBB1_61
.LBB1_59:
	s_wait_loadcnt 0x0
	v_lshl_add_u64 v[0:1], v[12:13], 4, s[8:9]
	global_store_b128 v[0:1], v[4:7], off
	s_endpgm
.LBB1_60:
                                        ; implicit-def: $vgpr6_vgpr7
.LBB1_61:
	s_cmp_lg_u32 s10, 0
	s_cbranch_scc1 .LBB1_63
; %bb.62:
	s_wait_loadcnt 0x0
	v_add_f64_e32 v[0:1], v[0:1], v[8:9]
	v_add_f64_e32 v[2:3], v[2:3], v[10:11]
.LBB1_63:
	s_wait_loadcnt 0x1
	s_delay_alu instid0(VALU_DEP_1) | instskip(SKIP_1) | instid1(VALU_DEP_3)
	v_mov_b64_e32 v[6:7], v[2:3]
	s_wait_xcnt 0x0
	v_mov_b64_e32 v[4:5], v[0:1]
	v_lshl_add_u64 v[0:1], v[12:13], 4, s[8:9]
	global_store_b128 v[0:1], v[4:7], off
	s_endpgm
.LBB1_64:
	s_mov_b32 s4, exec_lo
	s_delay_alu instid0(VALU_DEP_2)
	v_cmpx_u_f64_e32 v[6:7], v[6:7]
	s_cbranch_execnz .LBB1_66
.LBB1_65:
	s_or_b32 exec_lo, exec_lo, s4
	s_branch .LBB1_56
.LBB1_66:
	v_cmp_class_f64_e64 s2, v[0:1], 0x204
	v_cmp_class_f64_e64 s0, v[2:3], 0x204
	v_mov_b64_e32 v[20:21], v[10:11]
	v_mov_b64_e32 v[18:19], v[8:9]
	;; [unrolled: 1-line block ×4, first 2 shown]
	v_mov_b32_e32 v30, 0
	s_or_b32 s5, s2, s0
	s_delay_alu instid0(SALU_CYCLE_1)
	s_and_saveexec_b32 s1, s5
	s_cbranch_execz .LBB1_70
; %bb.67:
	v_cndmask_b32_e64 v14, 0, 1, s2
	v_cndmask_b32_e64 v15, 0, 1, s0
	v_cmp_u_f64_e32 vcc_lo, v[8:9], v[8:9]
	v_and_b32_e32 v19, 0x80000000, v9
	v_mov_b64_e32 v[20:21], v[10:11]
	v_cvt_f64_u32_e32 v[16:17], v14
	v_cvt_f64_u32_e32 v[14:15], v15
	s_mov_b32 s2, exec_lo
	v_cndmask_b32_e64 v18, v8, 0, vcc_lo
	v_cndmask_b32_e32 v19, v9, v19, vcc_lo
	s_delay_alu instid0(VALU_DEP_4) | instskip(NEXT) | instid1(VALU_DEP_4)
	v_bfi_b32 v17, 0x7fffffff, v17, v1
	v_bfi_b32 v15, 0x7fffffff, v15, v3
	v_cmpx_u_f64_e32 v[10:11], v[10:11]
; %bb.68:
	v_bfi_b32 v21, 0x7fffffff, 0, v11
	v_mov_b32_e32 v20, 0
; %bb.69:
	s_or_b32 exec_lo, exec_lo, s2
	v_mov_b32_e32 v30, 1
.LBB1_70:
	s_or_b32 exec_lo, exec_lo, s1
	v_cmp_class_f64_e64 s2, v[18:19], 0x204
	v_cmp_class_f64_e64 s0, v[20:21], 0x204
	s_or_b32 s5, s0, s2
	s_delay_alu instid0(SALU_CYCLE_1)
	s_and_saveexec_b32 s1, s5
	s_cbranch_execz .LBB1_74
; %bb.71:
	v_cndmask_b32_e64 v18, 0, 1, s2
	v_cndmask_b32_e64 v20, 0, 1, s0
	v_cmp_u_f64_e32 vcc_lo, v[16:17], v[16:17]
	s_mov_b32 s2, exec_lo
	s_delay_alu instid0(VALU_DEP_3) | instskip(NEXT) | instid1(VALU_DEP_3)
	v_cvt_f64_u32_e32 v[26:27], v18
	v_cvt_f64_u32_e32 v[28:29], v20
	v_and_b32_e32 v18, 0x80000000, v17
	v_cndmask_b32_e64 v16, v16, 0, vcc_lo
	s_delay_alu instid0(VALU_DEP_2)
	v_cndmask_b32_e32 v17, v17, v18, vcc_lo
	v_bfi_b32 v27, 0x7fffffff, v27, v19
	v_bfi_b32 v29, 0x7fffffff, v29, v21
	v_cmpx_u_f64_e32 v[14:15], v[14:15]
; %bb.72:
	v_bfi_b32 v15, 0x7fffffff, 0, v15
	v_mov_b32_e32 v14, 0
; %bb.73:
	s_or_b32 exec_lo, exec_lo, s2
	v_mov_b64_e32 v[20:21], v[28:29]
	v_mov_b64_e32 v[18:19], v[26:27]
	v_mov_b32_e32 v30, 1
.LBB1_74:
	s_or_b32 exec_lo, exec_lo, s1
	s_mov_b32 s0, 0
	s_mov_b32 s1, -1
	s_mov_b32 s5, exec_lo
	v_cmpx_eq_u32_e32 0, v30
	s_cbranch_execz .LBB1_80
; %bb.75:
	v_mul_f64_e32 v[26:27], v[0:1], v[8:9]
	v_mul_f64_e32 v[28:29], v[2:3], v[8:9]
	v_cmp_class_f64_e64 s2, v[24:25], 0x204
	v_cmp_class_f64_e64 s6, v[22:23], 0x204
	s_delay_alu instid0(VALU_DEP_4) | instskip(NEXT) | instid1(VALU_DEP_4)
	v_cmp_class_f64_e64 s1, v[26:27], 0x204
	v_cmp_class_f64_e64 s7, v[28:29], 0x204
	s_or_b32 s1, s1, s2
	s_delay_alu instid0(SALU_CYCLE_1) | instskip(NEXT) | instid1(SALU_CYCLE_1)
	s_or_b32 s1, s6, s1
	s_or_b32 s1, s7, s1
	s_delay_alu instid0(SALU_CYCLE_1)
	s_and_saveexec_b32 s6, s1
	s_cbranch_execz .LBB1_79
; %bb.76:
	v_cmp_u_f64_e32 vcc_lo, v[16:17], v[16:17]
	v_cmp_u_f64_e64 s0, v[14:15], v[14:15]
	v_cmp_u_f64_e64 s1, v[18:19], v[18:19]
	v_and_b32_e32 v22, 0x80000000, v17
	v_and_b32_e32 v23, 0x80000000, v15
	;; [unrolled: 1-line block ×3, first 2 shown]
	v_cndmask_b32_e64 v16, v16, 0, vcc_lo
	v_cndmask_b32_e64 v14, v14, 0, s0
	v_cndmask_b32_e64 v18, v18, 0, s1
	v_dual_cndmask_b32 v17, v17, v22, vcc_lo :: v_dual_cndmask_b32 v15, v15, v23, s0
	v_cndmask_b32_e64 v19, v19, v24, s1
	s_mov_b32 s0, exec_lo
	v_cmpx_u_f64_e32 v[20:21], v[20:21]
; %bb.77:
	v_bfi_b32 v21, 0x7fffffff, 0, v21
	v_mov_b32_e32 v20, 0
; %bb.78:
	s_or_b32 exec_lo, exec_lo, s0
	s_delay_alu instid0(SALU_CYCLE_1)
	s_mov_b32 s0, exec_lo
.LBB1_79:
	s_or_b32 exec_lo, exec_lo, s6
	s_delay_alu instid0(SALU_CYCLE_1)
	s_or_not1_b32 s1, s0, exec_lo
.LBB1_80:
	s_or_b32 exec_lo, exec_lo, s5
	s_and_saveexec_b32 s0, s1
	s_cbranch_execz .LBB1_82
; %bb.81:
	v_mul_f64_e32 v[4:5], v[20:21], v[14:15]
	v_mul_f64_e32 v[6:7], v[20:21], v[16:17]
	s_delay_alu instid0(VALU_DEP_2) | instskip(NEXT) | instid1(VALU_DEP_2)
	v_fma_f64 v[4:5], v[18:19], v[16:17], -v[4:5]
	v_fmac_f64_e32 v[6:7], v[18:19], v[14:15]
	s_delay_alu instid0(VALU_DEP_2) | instskip(NEXT) | instid1(VALU_DEP_2)
	v_mul_f64_e32 v[4:5], 0x7ff00000, v[4:5]
	v_mul_f64_e32 v[6:7], 0x7ff00000, v[6:7]
.LBB1_82:
	s_or_b32 exec_lo, exec_lo, s0
	s_branch .LBB1_65
	.section	.rodata,"a",@progbits
	.p2align	6, 0x0
	.amdhsa_kernel _Z6kernelIdEvPSt7complexIT_ES3_S3_8CalcKind
		.amdhsa_group_segment_fixed_size 0
		.amdhsa_private_segment_fixed_size 0
		.amdhsa_kernarg_size 288
		.amdhsa_user_sgpr_count 2
		.amdhsa_user_sgpr_dispatch_ptr 0
		.amdhsa_user_sgpr_queue_ptr 0
		.amdhsa_user_sgpr_kernarg_segment_ptr 1
		.amdhsa_user_sgpr_dispatch_id 0
		.amdhsa_user_sgpr_kernarg_preload_length 0
		.amdhsa_user_sgpr_kernarg_preload_offset 0
		.amdhsa_user_sgpr_private_segment_size 0
		.amdhsa_wavefront_size32 1
		.amdhsa_uses_dynamic_stack 0
		.amdhsa_enable_private_segment 0
		.amdhsa_system_sgpr_workgroup_id_x 1
		.amdhsa_system_sgpr_workgroup_id_y 0
		.amdhsa_system_sgpr_workgroup_id_z 0
		.amdhsa_system_sgpr_workgroup_info 0
		.amdhsa_system_vgpr_workitem_id 0
		.amdhsa_next_free_vgpr 62
		.amdhsa_next_free_sgpr 11
		.amdhsa_named_barrier_count 0
		.amdhsa_reserve_vcc 1
		.amdhsa_float_round_mode_32 0
		.amdhsa_float_round_mode_16_64 0
		.amdhsa_float_denorm_mode_32 3
		.amdhsa_float_denorm_mode_16_64 3
		.amdhsa_fp16_overflow 0
		.amdhsa_memory_ordered 1
		.amdhsa_forward_progress 1
		.amdhsa_inst_pref_size 79
		.amdhsa_round_robin_scheduling 0
		.amdhsa_exception_fp_ieee_invalid_op 0
		.amdhsa_exception_fp_denorm_src 0
		.amdhsa_exception_fp_ieee_div_zero 0
		.amdhsa_exception_fp_ieee_overflow 0
		.amdhsa_exception_fp_ieee_underflow 0
		.amdhsa_exception_fp_ieee_inexact 0
		.amdhsa_exception_int_div_zero 0
	.end_amdhsa_kernel
	.section	.text._Z6kernelIdEvPSt7complexIT_ES3_S3_8CalcKind,"axG",@progbits,_Z6kernelIdEvPSt7complexIT_ES3_S3_8CalcKind,comdat
.Lfunc_end1:
	.size	_Z6kernelIdEvPSt7complexIT_ES3_S3_8CalcKind, .Lfunc_end1-_Z6kernelIdEvPSt7complexIT_ES3_S3_8CalcKind
                                        ; -- End function
	.set _Z6kernelIdEvPSt7complexIT_ES3_S3_8CalcKind.num_vgpr, 62
	.set _Z6kernelIdEvPSt7complexIT_ES3_S3_8CalcKind.num_agpr, 0
	.set _Z6kernelIdEvPSt7complexIT_ES3_S3_8CalcKind.numbered_sgpr, 11
	.set _Z6kernelIdEvPSt7complexIT_ES3_S3_8CalcKind.num_named_barrier, 0
	.set _Z6kernelIdEvPSt7complexIT_ES3_S3_8CalcKind.private_seg_size, 0
	.set _Z6kernelIdEvPSt7complexIT_ES3_S3_8CalcKind.uses_vcc, 1
	.set _Z6kernelIdEvPSt7complexIT_ES3_S3_8CalcKind.uses_flat_scratch, 0
	.set _Z6kernelIdEvPSt7complexIT_ES3_S3_8CalcKind.has_dyn_sized_stack, 0
	.set _Z6kernelIdEvPSt7complexIT_ES3_S3_8CalcKind.has_recursion, 0
	.set _Z6kernelIdEvPSt7complexIT_ES3_S3_8CalcKind.has_indirect_call, 0
	.section	.AMDGPU.csdata,"",@progbits
; Kernel info:
; codeLenInByte = 10072
; TotalNumSgprs: 13
; NumVgprs: 62
; ScratchSize: 0
; MemoryBound: 0
; FloatMode: 240
; IeeeMode: 1
; LDSByteSize: 0 bytes/workgroup (compile time only)
; SGPRBlocks: 0
; VGPRBlocks: 3
; NumSGPRsForWavesPerEU: 13
; NumVGPRsForWavesPerEU: 62
; NamedBarCnt: 0
; Occupancy: 16
; WaveLimiterHint : 0
; COMPUTE_PGM_RSRC2:SCRATCH_EN: 0
; COMPUTE_PGM_RSRC2:USER_SGPR: 2
; COMPUTE_PGM_RSRC2:TRAP_HANDLER: 0
; COMPUTE_PGM_RSRC2:TGID_X_EN: 1
; COMPUTE_PGM_RSRC2:TGID_Y_EN: 0
; COMPUTE_PGM_RSRC2:TGID_Z_EN: 0
; COMPUTE_PGM_RSRC2:TIDIG_COMP_CNT: 0
	.section	.AMDGPU.gpr_maximums,"",@progbits
	.set amdgpu.max_num_vgpr, 0
	.set amdgpu.max_num_agpr, 0
	.set amdgpu.max_num_sgpr, 0
	.section	.AMDGPU.csdata,"",@progbits
	.type	__hip_cuid_26b12da048ec155a,@object ; @__hip_cuid_26b12da048ec155a
	.section	.bss,"aw",@nobits
	.globl	__hip_cuid_26b12da048ec155a
__hip_cuid_26b12da048ec155a:
	.byte	0                               ; 0x0
	.size	__hip_cuid_26b12da048ec155a, 1

	.ident	"AMD clang version 22.0.0git (https://github.com/RadeonOpenCompute/llvm-project roc-7.2.4 26084 f58b06dce1f9c15707c5f808fd002e18c2accf7e)"
	.section	".note.GNU-stack","",@progbits
	.addrsig
	.addrsig_sym __hip_cuid_26b12da048ec155a
	.amdgpu_metadata
---
amdhsa.kernels:
  - .args:
      - .address_space:  global
        .offset:         0
        .size:           8
        .value_kind:     global_buffer
      - .address_space:  global
        .offset:         8
        .size:           8
        .value_kind:     global_buffer
      - .address_space:  global
        .offset:         16
        .size:           8
        .value_kind:     global_buffer
      - .offset:         24
        .size:           4
        .value_kind:     by_value
      - .offset:         32
        .size:           4
        .value_kind:     hidden_block_count_x
      - .offset:         36
        .size:           4
        .value_kind:     hidden_block_count_y
      - .offset:         40
        .size:           4
        .value_kind:     hidden_block_count_z
      - .offset:         44
        .size:           2
        .value_kind:     hidden_group_size_x
      - .offset:         46
        .size:           2
        .value_kind:     hidden_group_size_y
      - .offset:         48
        .size:           2
        .value_kind:     hidden_group_size_z
      - .offset:         50
        .size:           2
        .value_kind:     hidden_remainder_x
      - .offset:         52
        .size:           2
        .value_kind:     hidden_remainder_y
      - .offset:         54
        .size:           2
        .value_kind:     hidden_remainder_z
      - .offset:         72
        .size:           8
        .value_kind:     hidden_global_offset_x
      - .offset:         80
        .size:           8
        .value_kind:     hidden_global_offset_y
      - .offset:         88
        .size:           8
        .value_kind:     hidden_global_offset_z
      - .offset:         96
        .size:           2
        .value_kind:     hidden_grid_dims
    .group_segment_fixed_size: 0
    .kernarg_segment_align: 8
    .kernarg_segment_size: 288
    .language:       OpenCL C
    .language_version:
      - 2
      - 0
    .max_flat_workgroup_size: 1024
    .name:           _Z6kernelIfEvPSt7complexIT_ES3_S3_8CalcKind
    .private_segment_fixed_size: 0
    .sgpr_count:     13
    .sgpr_spill_count: 0
    .symbol:         _Z6kernelIfEvPSt7complexIT_ES3_S3_8CalcKind.kd
    .uniform_work_group_size: 1
    .uses_dynamic_stack: false
    .vgpr_count:     25
    .vgpr_spill_count: 0
    .wavefront_size: 32
  - .args:
      - .address_space:  global
        .offset:         0
        .size:           8
        .value_kind:     global_buffer
      - .address_space:  global
        .offset:         8
        .size:           8
        .value_kind:     global_buffer
      - .address_space:  global
        .offset:         16
        .size:           8
        .value_kind:     global_buffer
      - .offset:         24
        .size:           4
        .value_kind:     by_value
      - .offset:         32
        .size:           4
        .value_kind:     hidden_block_count_x
      - .offset:         36
        .size:           4
        .value_kind:     hidden_block_count_y
      - .offset:         40
        .size:           4
        .value_kind:     hidden_block_count_z
      - .offset:         44
        .size:           2
        .value_kind:     hidden_group_size_x
      - .offset:         46
        .size:           2
        .value_kind:     hidden_group_size_y
      - .offset:         48
        .size:           2
        .value_kind:     hidden_group_size_z
      - .offset:         50
        .size:           2
        .value_kind:     hidden_remainder_x
      - .offset:         52
        .size:           2
        .value_kind:     hidden_remainder_y
      - .offset:         54
        .size:           2
        .value_kind:     hidden_remainder_z
      - .offset:         72
        .size:           8
        .value_kind:     hidden_global_offset_x
      - .offset:         80
        .size:           8
        .value_kind:     hidden_global_offset_y
      - .offset:         88
        .size:           8
        .value_kind:     hidden_global_offset_z
      - .offset:         96
        .size:           2
        .value_kind:     hidden_grid_dims
    .group_segment_fixed_size: 0
    .kernarg_segment_align: 8
    .kernarg_segment_size: 288
    .language:       OpenCL C
    .language_version:
      - 2
      - 0
    .max_flat_workgroup_size: 1024
    .name:           _Z6kernelIdEvPSt7complexIT_ES3_S3_8CalcKind
    .private_segment_fixed_size: 0
    .sgpr_count:     13
    .sgpr_spill_count: 0
    .symbol:         _Z6kernelIdEvPSt7complexIT_ES3_S3_8CalcKind.kd
    .uniform_work_group_size: 1
    .uses_dynamic_stack: false
    .vgpr_count:     62
    .vgpr_spill_count: 0
    .wavefront_size: 32
amdhsa.target:   amdgcn-amd-amdhsa--gfx1250
amdhsa.version:
  - 1
  - 2
...

	.end_amdgpu_metadata
